;; amdgpu-corpus repo=ROCm/rocFFT kind=compiled arch=gfx1030 opt=O3
	.text
	.amdgcn_target "amdgcn-amd-amdhsa--gfx1030"
	.amdhsa_code_object_version 6
	.protected	bluestein_single_back_len272_dim1_sp_op_CI_CI ; -- Begin function bluestein_single_back_len272_dim1_sp_op_CI_CI
	.globl	bluestein_single_back_len272_dim1_sp_op_CI_CI
	.p2align	8
	.type	bluestein_single_back_len272_dim1_sp_op_CI_CI,@function
bluestein_single_back_len272_dim1_sp_op_CI_CI: ; @bluestein_single_back_len272_dim1_sp_op_CI_CI
; %bb.0:
	s_load_dwordx4 s[12:15], s[4:5], 0x28
	v_mul_u32_u24_e32 v1, 0xf10, v0
	s_mov_b64 s[22:23], s[2:3]
	s_mov_b64 s[20:21], s[0:1]
	s_mov_b32 s0, exec_lo
	s_add_u32 s20, s20, s7
	v_lshrrev_b32_e32 v1, 16, v1
	s_addc_u32 s21, s21, 0
	v_mad_u64_u32 v[76:77], null, s6, 7, v[1:2]
	v_mov_b32_e32 v77, 0
	s_waitcnt lgkmcnt(0)
	v_cmpx_gt_u64_e64 s[12:13], v[76:77]
	s_cbranch_execz .LBB0_10
; %bb.1:
	s_clause 0x1
	s_load_dwordx4 s[8:11], s[4:5], 0x18
	s_load_dwordx4 s[0:3], s[4:5], 0x0
	v_mul_lo_u16 v1, v1, 17
	v_mul_hi_u32 v33, 0x24924925, v76
	s_load_dwordx2 s[4:5], s[4:5], 0x38
                                        ; implicit-def: $vgpr97
	v_sub_nc_u16 v0, v0, v1
	v_sub_nc_u32_e32 v34, v76, v33
	v_and_b32_e32 v99, 0xffff, v0
	v_lshrrev_b32_e32 v34, 1, v34
	v_lshlrev_b32_e32 v103, 3, v99
	s_waitcnt lgkmcnt(0)
	s_load_dwordx4 s[16:19], s[8:9], 0x0
	s_clause 0xb
	global_load_dwordx2 v[81:82], v103, s[0:1]
	global_load_dwordx2 v[83:84], v103, s[0:1] offset:136
	global_load_dwordx2 v[89:90], v103, s[0:1] offset:272
	;; [unrolled: 1-line block ×11, first 2 shown]
	v_add_nc_u32_e32 v33, v34, v33
	v_lshrrev_b32_e32 v33, 2, v33
	v_mul_lo_u32 v33, v33, 7
	s_waitcnt lgkmcnt(0)
	v_mad_u64_u32 v[1:2], null, s18, v76, 0
	v_mad_u64_u32 v[3:4], null, s16, v99, 0
	s_mul_i32 s6, s17, 0x88
	s_mul_hi_u32 s7, s16, 0x88
	s_mul_i32 s8, s16, 0x88
	s_add_i32 s7, s7, s6
	v_sub_nc_u32_e32 v33, v76, v33
	v_mad_u64_u32 v[5:6], null, s19, v76, v[2:3]
	v_mul_u32_u24_e32 v37, 0x110, v33
	v_lshlrev_b32_e32 v209, 3, v37
	v_mad_u64_u32 v[6:7], null, s17, v99, v[4:5]
	v_mov_b32_e32 v2, v5
	v_add_nc_u32_e32 v100, v103, v209
	v_lshl_add_u32 v102, v99, 7, v209
	v_lshlrev_b64 v[1:2], 3, v[1:2]
	v_mov_b32_e32 v4, v6
	v_add_co_u32 v1, vcc_lo, s14, v1
	v_lshlrev_b64 v[3:4], 3, v[3:4]
	v_add_co_ci_u32_e32 v2, vcc_lo, s15, v2, vcc_lo
	v_add_co_u32 v1, vcc_lo, v1, v3
	v_add_co_ci_u32_e32 v2, vcc_lo, v2, v4, vcc_lo
	v_add_co_u32 v3, vcc_lo, v1, s8
	v_add_co_ci_u32_e32 v4, vcc_lo, s7, v2, vcc_lo
	global_load_dwordx2 v[1:2], v[1:2], off
	v_add_co_u32 v5, vcc_lo, v3, s8
	v_add_co_ci_u32_e32 v6, vcc_lo, s7, v4, vcc_lo
	s_clause 0x1
	global_load_dwordx2 v[68:69], v103, s[0:1] offset:1632
	global_load_dwordx2 v[64:65], v103, s[0:1] offset:1768
	v_add_co_u32 v7, vcc_lo, v5, s8
	v_add_co_ci_u32_e32 v8, vcc_lo, s7, v6, vcc_lo
	v_add_co_u32 v9, vcc_lo, v7, s8
	v_add_co_ci_u32_e32 v10, vcc_lo, s7, v8, vcc_lo
	;; [unrolled: 2-line block ×3, first 2 shown]
	s_clause 0x3
	global_load_dwordx2 v[3:4], v[3:4], off
	global_load_dwordx2 v[5:6], v[5:6], off
	;; [unrolled: 1-line block ×4, first 2 shown]
	v_add_co_u32 v13, vcc_lo, v11, s8
	v_add_co_ci_u32_e32 v14, vcc_lo, s7, v12, vcc_lo
	global_load_dwordx2 v[11:12], v[11:12], off
	v_add_co_u32 v15, vcc_lo, v13, s8
	v_add_co_ci_u32_e32 v16, vcc_lo, s7, v14, vcc_lo
	global_load_dwordx2 v[13:14], v[13:14], off
	;; [unrolled: 3-line block ×10, first 2 shown]
	s_clause 0x1
	global_load_dwordx2 v[72:73], v103, s[0:1] offset:1904
	global_load_dwordx2 v[74:75], v103, s[0:1] offset:2040
	global_load_dwordx2 v[31:32], v[31:32], off
	s_load_dwordx4 s[8:11], s[10:11], 0x0
	v_cmp_gt_u16_e32 vcc_lo, 16, v0
	v_lshlrev_b32_e32 v0, 4, v99
	s_waitcnt vmcnt(19)
	v_mul_f32_e32 v33, v2, v82
	v_mul_f32_e32 v34, v1, v82
	v_fmac_f32_e32 v33, v1, v81
	v_fma_f32 v34, v2, v81, -v34
	s_waitcnt vmcnt(16)
	v_mul_f32_e32 v1, v4, v84
	v_mul_f32_e32 v2, v3, v84
	s_waitcnt vmcnt(15)
	v_mul_f32_e32 v35, v6, v90
	v_mul_f32_e32 v36, v5, v90
	v_fmac_f32_e32 v1, v3, v83
	s_waitcnt vmcnt(14)
	v_mul_f32_e32 v3, v8, v88
	v_fma_f32 v2, v4, v83, -v2
	v_fmac_f32_e32 v35, v5, v89
	v_fma_f32 v36, v6, v89, -v36
	v_mul_f32_e32 v4, v7, v88
	v_fmac_f32_e32 v3, v7, v87
	s_waitcnt vmcnt(13)
	v_mul_f32_e32 v5, v10, v94
	v_mul_f32_e32 v6, v9, v94
	s_waitcnt vmcnt(12)
	v_mul_f32_e32 v7, v12, v96
	v_mul_f32_e32 v38, v11, v96
	v_fma_f32 v4, v8, v87, -v4
	v_fmac_f32_e32 v5, v9, v93
	v_fma_f32 v6, v10, v93, -v6
	v_fmac_f32_e32 v7, v11, v95
	v_fma_f32 v8, v12, v95, -v38
	ds_write2_b64 v100, v[33:34], v[1:2] offset1:17
	ds_write2_b64 v100, v[35:36], v[3:4] offset0:34 offset1:51
	s_waitcnt vmcnt(11)
	v_mul_f32_e32 v1, v14, v86
	v_mul_f32_e32 v2, v13, v86
	s_waitcnt vmcnt(10)
	v_mul_f32_e32 v3, v16, v92
	v_mul_f32_e32 v4, v15, v92
	ds_write2_b64 v100, v[5:6], v[7:8] offset0:68 offset1:85
	s_waitcnt vmcnt(9)
	v_mul_f32_e32 v5, v18, v80
	v_mul_f32_e32 v6, v17, v80
	s_waitcnt vmcnt(8)
	v_mul_f32_e32 v7, v20, v78
	v_mul_f32_e32 v8, v19, v78
	v_fmac_f32_e32 v1, v13, v85
	v_fma_f32 v2, v14, v85, -v2
	s_waitcnt vmcnt(7)
	v_mul_f32_e32 v9, v22, v71
	v_mul_f32_e32 v10, v21, v71
	v_fmac_f32_e32 v3, v15, v91
	v_fma_f32 v4, v16, v91, -v4
	v_fmac_f32_e32 v5, v17, v79
	s_waitcnt vmcnt(6)
	v_mul_f32_e32 v11, v24, v67
	v_mul_f32_e32 v12, v23, v67
	v_fma_f32 v6, v18, v79, -v6
	v_fmac_f32_e32 v7, v19, v77
	v_fma_f32 v8, v20, v77, -v8
	s_waitcnt vmcnt(5)
	v_mul_f32_e32 v13, v26, v69
	v_mul_f32_e32 v14, v25, v69
	v_fmac_f32_e32 v9, v21, v70
	v_fma_f32 v10, v22, v70, -v10
	v_fmac_f32_e32 v11, v23, v66
	s_waitcnt vmcnt(4)
	v_mul_f32_e32 v15, v28, v65
	v_mul_f32_e32 v16, v27, v65
	v_fma_f32 v12, v24, v66, -v12
	s_waitcnt vmcnt(2)
	v_mul_f32_e32 v17, v30, v73
	v_mul_f32_e32 v18, v29, v73
	s_waitcnt vmcnt(0)
	v_mul_f32_e32 v19, v32, v75
	v_mul_f32_e32 v20, v31, v75
	v_fmac_f32_e32 v13, v25, v68
	v_fma_f32 v14, v26, v68, -v14
	v_fmac_f32_e32 v15, v27, v64
	v_fma_f32 v16, v28, v64, -v16
	;; [unrolled: 2-line block ×4, first 2 shown]
	ds_write2_b64 v100, v[1:2], v[3:4] offset0:102 offset1:119
	ds_write2_b64 v100, v[5:6], v[7:8] offset0:136 offset1:153
	;; [unrolled: 1-line block ×5, first 2 shown]
	s_waitcnt lgkmcnt(0)
	s_barrier
	buffer_gl0_inv
	ds_read2_b64 v[1:4], v100 offset1:17
	ds_read2_b64 v[5:8], v100 offset0:136 offset1:153
	ds_read2_b64 v[9:12], v100 offset0:68 offset1:85
	;; [unrolled: 1-line block ×7, first 2 shown]
	v_or_b32_e32 v33, v37, v99
	s_waitcnt lgkmcnt(0)
	s_barrier
	buffer_gl0_inv
	v_lshlrev_b32_e32 v189, 3, v33
	v_sub_f32_e32 v5, v1, v5
	v_sub_f32_e32 v6, v2, v6
	;; [unrolled: 1-line block ×16, first 2 shown]
	v_fma_f32 v9, v9, 2.0, -v13
	v_fma_f32 v10, v10, 2.0, -v14
	;; [unrolled: 1-line block ×8, first 2 shown]
	v_sub_f32_e32 v14, v5, v14
	v_add_f32_e32 v13, v6, v13
	v_sub_f32_e32 v30, v21, v30
	v_add_f32_e32 v29, v22, v29
	;; [unrolled: 2-line block ×4, first 2 shown]
	v_fma_f32 v1, v1, 2.0, -v5
	v_fma_f32 v2, v2, 2.0, -v6
	;; [unrolled: 1-line block ×16, first 2 shown]
	v_fmamk_f32 v33, v30, 0x3f3504f3, v14
	v_fmamk_f32 v34, v29, 0x3f3504f3, v13
	v_sub_f32_e32 v9, v1, v9
	v_sub_f32_e32 v10, v2, v10
	;; [unrolled: 1-line block ×8, first 2 shown]
	v_fmamk_f32 v35, v32, 0x3f3504f3, v16
	v_fmamk_f32 v48, v31, 0x3f3504f3, v15
	;; [unrolled: 1-line block ×4, first 2 shown]
	v_fmac_f32_e32 v33, 0xbf3504f3, v29
	v_fmac_f32_e32 v34, 0x3f3504f3, v30
	v_fmamk_f32 v29, v23, 0xbf3504f3, v7
	v_fmamk_f32 v30, v24, 0xbf3504f3, v8
	v_fma_f32 v1, v1, 2.0, -v9
	v_fma_f32 v2, v2, 2.0, -v10
	;; [unrolled: 1-line block ×8, first 2 shown]
	v_sub_f32_e32 v26, v9, v26
	v_add_f32_e32 v25, v10, v25
	v_sub_f32_e32 v28, v11, v28
	v_add_f32_e32 v27, v12, v27
	v_fmac_f32_e32 v35, 0xbf3504f3, v31
	v_fmac_f32_e32 v48, 0x3f3504f3, v32
	;; [unrolled: 1-line block ×6, first 2 shown]
	v_sub_f32_e32 v17, v1, v17
	v_sub_f32_e32 v18, v2, v18
	v_fma_f32 v9, v9, 2.0, -v26
	v_fma_f32 v10, v10, 2.0, -v25
	;; [unrolled: 1-line block ×4, first 2 shown]
	v_sub_f32_e32 v19, v3, v19
	v_sub_f32_e32 v20, v4, v20
	v_fma_f32 v11, v11, 2.0, -v28
	v_fma_f32 v12, v12, 2.0, -v27
	;; [unrolled: 1-line block ×8, first 2 shown]
	v_fmamk_f32 v36, v28, 0x3f3504f3, v26
	v_fmamk_f32 v37, v27, 0x3f3504f3, v25
	;; [unrolled: 1-line block ×4, first 2 shown]
	v_fma_f32 v1, v1, 2.0, -v17
	v_fma_f32 v2, v2, 2.0, -v18
	;; [unrolled: 1-line block ×4, first 2 shown]
	v_fmamk_f32 v40, v11, 0xbf3504f3, v9
	v_fmamk_f32 v41, v12, 0xbf3504f3, v10
	;; [unrolled: 1-line block ×8, first 2 shown]
	v_sub_f32_e32 v44, v17, v20
	v_add_f32_e32 v45, v18, v19
	v_fmac_f32_e32 v36, 0xbf3504f3, v27
	v_fmac_f32_e32 v37, 0x3f3504f3, v28
	;; [unrolled: 1-line block ×4, first 2 shown]
	v_sub_f32_e32 v48, v1, v3
	v_sub_f32_e32 v49, v2, v4
	v_fmac_f32_e32 v40, 0xbf3504f3, v12
	v_fmac_f32_e32 v41, 0x3f3504f3, v11
	;; [unrolled: 1-line block ×8, first 2 shown]
	v_fma_f32 v52, v17, 2.0, -v44
	v_fma_f32 v53, v18, 2.0, -v45
	;; [unrolled: 1-line block ×16, first 2 shown]
	ds_write_b128 v102, v[36:39] offset:112
	ds_write_b128 v102, v[56:59] offset:48
	;; [unrolled: 1-line block ×7, first 2 shown]
	ds_write_b128 v102, v[32:35]
	s_waitcnt lgkmcnt(0)
	s_barrier
	buffer_gl0_inv
	s_and_saveexec_b32 s6, vcc_lo
	s_cbranch_execz .LBB0_3
; %bb.2:
	ds_read2_b64 v[32:35], v189 offset1:16
	ds_read2_b64 v[60:63], v189 offset0:32 offset1:48
	ds_read2_b64 v[52:55], v189 offset0:64 offset1:80
	;; [unrolled: 1-line block ×7, first 2 shown]
	ds_read_b64 v[97:98], v189 offset:2048
.LBB0_3:
	s_or_b32 exec_lo, exec_lo, s6
	v_and_b32_e32 v0, 0xf0, v0
	v_lshlrev_b32_e32 v28, 3, v0
	s_clause 0x7
	global_load_dwordx4 v[20:23], v28, s[2:3]
	global_load_dwordx4 v[12:15], v28, s[2:3] offset:16
	global_load_dwordx4 v[8:11], v28, s[2:3] offset:32
	;; [unrolled: 1-line block ×7, first 2 shown]
	s_waitcnt vmcnt(7) lgkmcnt(8)
	v_mul_f32_e32 v120, v35, v21
	v_mul_f32_e32 v149, v34, v21
	s_waitcnt lgkmcnt(7)
	v_mul_f32_e32 v121, v61, v23
	v_mul_f32_e32 v119, v60, v23
	s_waitcnt vmcnt(6)
	v_mul_f32_e32 v122, v63, v13
	v_fma_f32 v34, v34, v20, -v120
	s_waitcnt vmcnt(1) lgkmcnt(1)
	v_mul_f32_e32 v107, v36, v27
	s_waitcnt vmcnt(0) lgkmcnt(0)
	v_mul_f32_e32 v135, v98, v31
	v_mul_f32_e32 v105, v97, v31
	;; [unrolled: 1-line block ×4, first 2 shown]
	v_fmac_f32_e32 v149, v35, v20
	v_fma_f32 v147, v97, v30, -v135
	v_fmac_f32_e32 v105, v98, v30
	v_mul_f32_e32 v118, v62, v13
	v_mul_f32_e32 v123, v53, v15
	v_mul_f32_e32 v127, v49, v3
	v_mul_f32_e32 v128, v51, v5
	v_mul_f32_e32 v133, v37, v27
	v_fma_f32 v120, v60, v22, -v121
	v_fmac_f32_e32 v119, v61, v22
	v_fmac_f32_e32 v107, v37, v26
	v_fma_f32 v37, v38, v28, -v134
	v_fmac_f32_e32 v106, v39, v28
	v_sub_f32_e32 v152, v34, v147
	v_sub_f32_e32 v150, v149, v105
	v_mul_f32_e32 v117, v52, v15
	v_mul_f32_e32 v112, v48, v3
	;; [unrolled: 1-line block ×8, first 2 shown]
	v_fma_f32 v62, v62, v12, -v122
	v_fmac_f32_e32 v118, v63, v12
	v_fma_f32 v61, v52, v14, -v123
	v_fma_f32 v52, v48, v2, -v127
	;; [unrolled: 1-line block ×4, first 2 shown]
	v_add_f32_e32 v35, v34, v147
	v_add_f32_e32 v151, v149, v105
	v_sub_f32_e32 v121, v120, v37
	v_sub_f32_e32 v128, v119, v106
	v_mul_f32_e32 v153, 0xbeb8f4ab, v150
	v_mul_f32_e32 v154, 0xbeb8f4ab, v152
	;; [unrolled: 1-line block ×7, first 2 shown]
	v_fmac_f32_e32 v117, v53, v14
	v_fmac_f32_e32 v112, v49, v2
	v_fma_f32 v49, v40, v6, -v129
	v_fmac_f32_e32 v113, v41, v6
	v_fmac_f32_e32 v110, v43, v16
	v_fma_f32 v41, v46, v24, -v132
	v_fmac_f32_e32 v108, v47, v24
	v_add_f32_e32 v38, v120, v37
	v_add_f32_e32 v43, v119, v106
	v_sub_f32_e32 v122, v62, v48
	v_sub_f32_e32 v129, v118, v107
	v_mul_f32_e32 v140, 0xbf2c7751, v128
	v_mul_f32_e32 v144, 0xbf2c7751, v121
	v_fmamk_f32 v97, v35, 0x3f6eb680, v153
	v_fma_f32 v98, 0x3f6eb680, v151, -v154
	v_mul_f32_e32 v125, v57, v11
	v_mul_f32_e32 v115, v56, v11
	v_fma_f32 v60, v54, v8, -v124
	v_fmac_f32_e32 v116, v55, v8
	v_fma_f32 v42, v42, v16, -v130
	v_fma_f32 v40, v44, v18, -v131
	v_fmac_f32_e32 v109, v45, v18
	v_add_f32_e32 v39, v62, v48
	v_add_f32_e32 v45, v118, v107
	v_sub_f32_e32 v123, v61, v41
	v_sub_f32_e32 v130, v117, v108
	v_mul_f32_e32 v138, 0xbf65296c, v129
	v_mul_f32_e32 v145, 0xbf65296c, v122
	v_fmamk_f32 v134, v38, 0x3f3d2fb0, v140
	v_fma_f32 v139, 0x3f3d2fb0, v43, -v144
	v_add_f32_e32 v97, v32, v97
	v_add_f32_e32 v98, v33, v98
	v_mul_f32_e32 v126, v59, v1
	v_mul_f32_e32 v114, v58, v1
	v_fma_f32 v54, v56, v10, -v125
	v_fmac_f32_e32 v115, v57, v10
	v_add_f32_e32 v44, v61, v41
	v_add_f32_e32 v47, v117, v108
	v_sub_f32_e32 v124, v60, v40
	v_sub_f32_e32 v132, v116, v109
	v_mul_f32_e32 v135, 0xbf7ee86f, v130
	v_mul_f32_e32 v190, 0xbf7ee86f, v123
	v_fmamk_f32 v142, v39, 0x3ee437d1, v138
	v_fma_f32 v146, 0x3ee437d1, v45, -v145
	v_add_f32_e32 v97, v134, v97
	v_add_f32_e32 v98, v139, v98
	v_fma_f32 v53, v58, v0, -v126
	v_fmac_f32_e32 v114, v59, v0
	v_add_f32_e32 v46, v60, v40
	v_add_f32_e32 v55, v116, v109
	v_sub_f32_e32 v125, v54, v42
	v_sub_f32_e32 v137, v115, v110
	v_mul_f32_e32 v131, 0xbf763a35, v132
	v_mul_f32_e32 v136, 0xbf763a35, v124
	v_fmamk_f32 v139, v44, 0x3dbcf732, v135
	v_fma_f32 v155, 0x3dbcf732, v47, -v190
	v_add_f32_e32 v97, v142, v97
	v_add_f32_e32 v98, v146, v98
	v_fmac_f32_e32 v111, v51, v4
	v_add_f32_e32 v51, v54, v42
	v_add_f32_e32 v57, v115, v110
	v_sub_f32_e32 v126, v53, v49
	v_sub_f32_e32 v143, v114, v113
	v_mul_f32_e32 v101, 0xbf4c4adb, v137
	v_mul_f32_e32 v186, 0xbf4c4adb, v125
	v_fmamk_f32 v146, v46, 0xbe8c1d8e, v131
	v_fma_f32 v156, 0xbe8c1d8e, v55, -v136
	v_add_f32_e32 v97, v139, v97
	v_add_f32_e32 v98, v155, v98
	;; [unrolled: 1-line block ×4, first 2 shown]
	v_sub_f32_e32 v127, v52, v50
	v_sub_f32_e32 v148, v112, v111
	v_mul_f32_e32 v133, 0xbf06c442, v143
	v_mul_f32_e32 v104, 0xbf06c442, v126
	v_fmamk_f32 v155, v51, 0xbf1a4643, v101
	v_fma_f32 v157, 0xbf1a4643, v57, -v186
	v_add_f32_e32 v97, v146, v97
	v_add_f32_e32 v98, v156, v98
	v_add_f32_e32 v58, v52, v50
	v_add_f32_e32 v63, v112, v111
	v_mul_f32_e32 v191, 0xbe3c28d5, v148
	v_mul_f32_e32 v139, 0xbe3c28d5, v127
	v_fmamk_f32 v156, v56, 0xbf59a7d5, v133
	v_fma_f32 v158, 0xbf59a7d5, v59, -v104
	v_add_f32_e32 v97, v155, v97
	v_add_f32_e32 v98, v157, v98
	v_fmamk_f32 v155, v58, 0xbf7ba420, v191
	v_fma_f32 v157, 0xbf7ba420, v63, -v139
	v_add_f32_e32 v97, v156, v97
	v_add_f32_e32 v98, v158, v98
	;; [unrolled: 1-line block ×4, first 2 shown]
	s_and_saveexec_b32 s2, vcc_lo
	s_cbranch_execz .LBB0_5
; %bb.4:
	v_mul_f32_e32 v155, 0x3f6eb680, v151
	v_mul_f32_e32 v157, 0xbf59a7d5, v151
	;; [unrolled: 1-line block ×5, first 2 shown]
	v_add_f32_e32 v154, v154, v155
	v_mul_f32_e32 v155, 0x3f6eb680, v35
	v_mul_f32_e32 v165, 0x3ee437d1, v151
	v_fmamk_f32 v158, v152, 0x3f06c442, v157
	v_fmac_f32_e32 v157, 0xbf06c442, v152
	v_fmamk_f32 v160, v152, 0x3f4c4adb, v159
	v_sub_f32_e32 v153, v155, v153
	v_mul_f32_e32 v155, 0xbf7ba420, v151
	v_fmac_f32_e32 v159, 0xbf4c4adb, v152
	v_fmamk_f32 v162, v152, 0x3f763a35, v161
	v_fmac_f32_e32 v161, 0xbf763a35, v152
	v_fmamk_f32 v164, v152, 0x3f7ee86f, v163
	v_fmamk_f32 v156, v152, 0x3e3c28d5, v155
	v_fmac_f32_e32 v155, 0xbe3c28d5, v152
	v_fmac_f32_e32 v163, 0xbf7ee86f, v152
	v_fmamk_f32 v166, v152, 0x3f65296c, v165
	v_fmac_f32_e32 v165, 0xbf65296c, v152
	v_mul_f32_e32 v152, 0xbf2c7751, v152
	v_mul_f32_e32 v176, 0xbf65296c, v150
	;; [unrolled: 1-line block ×5, first 2 shown]
	v_fmamk_f32 v167, v151, 0x3f3d2fb0, v152
	v_fma_f32 v151, 0x3f3d2fb0, v151, -v152
	v_mul_f32_e32 v152, 0xbe3c28d5, v150
	v_mul_f32_e32 v175, 0xbf7ee86f, v150
	;; [unrolled: 1-line block ×3, first 2 shown]
	v_fmamk_f32 v178, v35, 0x3ee437d1, v176
	v_fma_f32 v176, 0x3ee437d1, v35, -v176
	v_add_f32_e32 v142, v33, v165
	v_fmamk_f32 v168, v35, 0xbf7ba420, v152
	v_fma_f32 v152, 0xbf7ba420, v35, -v152
	v_fmamk_f32 v170, v35, 0xbf59a7d5, v169
	v_fma_f32 v169, 0xbf59a7d5, v35, -v169
	;; [unrolled: 2-line block ×5, first 2 shown]
	v_fma_f32 v179, 0x3f3d2fb0, v35, -v150
	v_fmac_f32_e32 v150, 0x3f3d2fb0, v35
	buffer_store_dword v142, off, s[20:23], 0 offset:16 ; 4-byte Folded Spill
	v_add_f32_e32 v142, v32, v176
	v_mul_f32_e32 v192, 0xbf1a4643, v43
	v_add_f32_e32 v35, v33, v166
	v_add_f32_e32 v166, v32, v178
	;; [unrolled: 1-line block ×22, first 2 shown]
	buffer_store_dword v142, off, s[20:23], 0 offset:12 ; 4-byte Folded Spill
	v_add_f32_e32 v187, v33, v167
	v_add_f32_e32 v179, v32, v179
	;; [unrolled: 1-line block ×3, first 2 shown]
	buffer_store_dword v37, off, s[20:23], 0 ; 4-byte Folded Spill
	buffer_store_dword v42, off, s[20:23], 0 offset:4 ; 4-byte Folded Spill
	v_add_f32_e32 v42, v32, v153
	v_add_f32_e32 v176, v33, v149
	;; [unrolled: 1-line block ×5, first 2 shown]
	v_fmamk_f32 v32, v121, 0x3f4c4adb, v192
	v_mul_f32_e32 v193, 0xbf7ba420, v45
	v_mul_f32_e32 v194, 0xbe8c1d8e, v47
	buffer_store_dword v33, off, s[20:23], 0 offset:8 ; 4-byte Folded Spill
	v_mul_f32_e32 v195, 0x3f3d2fb0, v55
	v_add_f32_e32 v32, v32, v35
	v_fmamk_f32 v33, v122, 0xbe3c28d5, v193
	v_mul_f32_e32 v196, 0xbf4c4adb, v128
	v_mul_f32_e32 v197, 0x3f6eb680, v57
	buffer_store_dword v34, off, s[20:23], 0 offset:20 ; 4-byte Folded Spill
	v_mul_f32_e32 v198, 0x3e3c28d5, v129
	v_add_f32_e32 v32, v33, v32
	v_fmamk_f32 v33, v123, 0xbf763a35, v194
	v_fmamk_f32 v34, v125, 0x3eb8f4ab, v197
	v_mul_f32_e32 v199, 0x3dbcf732, v59
	v_mul_f32_e32 v200, 0x3f763a35, v130
	;; [unrolled: 1-line block ×3, first 2 shown]
	v_add_f32_e32 v32, v33, v32
	v_fmamk_f32 v33, v124, 0xbf2c7751, v195
	v_mul_f32_e32 v202, 0xbeb8f4ab, v137
	v_mul_f32_e32 v203, 0xbf7ee86f, v143
	;; [unrolled: 1-line block ×4, first 2 shown]
	v_add_f32_e32 v32, v33, v32
	v_fmamk_f32 v33, v38, 0xbf1a4643, v196
	v_mul_f32_e32 v205, 0xbf7ba420, v43
	v_mul_f32_e32 v206, 0xbe8c1d8e, v45
	;; [unrolled: 1-line block ×3, first 2 shown]
	v_add_f32_e32 v32, v34, v32
	v_add_f32_e32 v33, v33, v166
	v_fmamk_f32 v34, v39, 0xbf7ba420, v198
	v_fmamk_f32 v35, v122, 0xbf763a35, v206
	v_mul_f32_e32 v208, 0x3ee437d1, v55
	v_mov_b32_e32 v141, v138
	v_mov_b32_e32 v138, v209
	v_add_f32_e32 v33, v34, v33
	v_fmamk_f32 v34, v126, 0x3f7ee86f, v199
	v_mul_f32_e32 v209, 0xbf59a7d5, v57
	v_mul_f32_e32 v210, 0xbf1a4643, v59
	v_mul_f32_e32 v211, 0xbe3c28d5, v128
	v_mul_f32_e32 v212, 0x3eb8f4ab, v130
	v_add_f32_e32 v32, v34, v32
	v_fmamk_f32 v34, v44, 0xbe8c1d8e, v200
	v_mul_f32_e32 v213, 0xbf65296c, v132
	v_mul_f32_e32 v214, 0xbf06c442, v137
	v_mul_f32_e32 v215, 0x3f4c4adb, v143
	v_mul_f32_e32 v216, 0x3f3d2fb0, v63
	;; [unrolled: 6-line block ×3, first 2 shown]
	v_add_f32_e32 v33, v34, v33
	v_fmamk_f32 v34, v51, 0x3f6eb680, v202
	v_mul_f32_e32 v219, 0xbf7ba420, v55
	v_fmamk_f32 v153, v122, 0xbf2c7751, v167
	v_mul_f32_e32 v220, 0x3dbcf732, v57
	v_mul_f32_e32 v221, 0x3f6eb680, v59
	v_add_f32_e32 v33, v34, v33
	v_fmamk_f32 v34, v56, 0x3dbcf732, v203
	v_mul_f32_e32 v222, 0x3f06c442, v128
	v_mul_f32_e32 v223, 0xbf65296c, v130
	v_mul_f32_e32 v224, 0xbe3c28d5, v132
	v_mul_f32_e32 v225, 0x3f7ee86f, v137
	v_add_f32_e32 v34, v34, v33
	v_fmamk_f32 v33, v127, 0x3f06c442, v151
	v_mul_f32_e32 v226, 0xbeb8f4ab, v143
	v_mul_f32_e32 v227, 0xbf1a4643, v63
	;; [unrolled: 6-line block ×3, first 2 shown]
	v_fmamk_f32 v155, v122, 0x3eb8f4ab, v165
	v_mul_f32_e32 v231, 0x3f3d2fb0, v57
	v_add_f32_e32 v32, v32, v34
	v_fmamk_f32 v34, v121, 0x3e3c28d5, v205
	v_mul_f32_e32 v232, 0xbf7ba420, v59
	v_mul_f32_e32 v233, 0x3f763a35, v128
	;; [unrolled: 1-line block ×4, first 2 shown]
	v_add_f32_e32 v34, v34, v164
	v_mul_f32_e32 v164, 0xbe8c1d8e, v43
	v_mul_f32_e32 v236, 0xbf2c7751, v137
	;; [unrolled: 1-line block ×4, first 2 shown]
	v_add_f32_e32 v34, v35, v34
	v_fmamk_f32 v35, v123, 0xbeb8f4ab, v207
	v_mul_f32_e32 v239, 0x3f65296c, v148
	v_mul_f32_e32 v163, 0x3dbcf732, v45
	v_mul_f32_e32 v240, 0xbf1a4643, v47
	v_mul_f32_e32 v241, 0x3f6eb680, v55
	v_add_f32_e32 v34, v35, v34
	v_fmamk_f32 v35, v124, 0x3f65296c, v208
	v_fmamk_f32 v157, v122, 0x3f7ee86f, v163
	v_mul_f32_e32 v242, 0xbf7ba420, v57
	v_mul_f32_e32 v243, 0x3f3d2fb0, v59
	v_mul_f32_e32 v244, 0x3f65296c, v128
	v_add_f32_e32 v34, v35, v34
	v_fmamk_f32 v35, v125, 0x3f06c442, v209
	v_mul_f32_e32 v245, 0x3f4c4adb, v130
	v_mul_f32_e32 v246, 0xbeb8f4ab, v132
	v_mul_f32_e32 v247, 0xbe3c28d5, v137
	v_mul_f32_e32 v248, 0x3f2c7751, v143
	v_add_f32_e32 v34, v35, v34
	v_fmamk_f32 v35, v126, 0xbf4c4adb, v210
	v_mul_f32_e32 v249, 0xbe8c1d8e, v63
	;; [unrolled: 6-line block ×3, first 2 shown]
	v_fmamk_f32 v159, v122, 0x3f06c442, v161
	v_mul_f32_e32 v253, 0xbe8c1d8e, v59
	v_mul_f32_e32 v254, 0x3eb8f4ab, v128
	v_add_f32_e32 v35, v35, v177
	v_mul_f32_e32 v177, 0x3f763a35, v129
	v_mov_b32_e32 v37, v41
	v_mov_b32_e32 v41, v139
	v_mov_b32_e32 v139, v101
	v_mov_b32_e32 v142, v131
	v_fmamk_f32 v152, v39, 0xbe8c1d8e, v177
	v_mul_f32_e32 v131, 0xbf4c4adb, v132
	v_mov_b32_e32 v146, v133
	v_mul_f32_e32 v133, 0x3f65296c, v137
	v_mul_f32_e32 v134, 0xbf763a35, v143
	v_add_f32_e32 v35, v152, v35
	v_fmamk_f32 v152, v44, 0x3f6eb680, v212
	v_mov_b32_e32 v149, v147
	v_mov_b32_e32 v147, v135
	v_mul_f32_e32 v135, 0x3dbcf732, v63
	v_mov_b32_e32 v36, v99
	v_add_f32_e32 v35, v152, v35
	v_fmamk_f32 v152, v46, 0x3ee437d1, v213
	v_mov_b32_e32 v99, v136
	v_mul_f32_e32 v136, 0x3f7ee86f, v148
	v_fmac_f32_e32 v161, 0xbf06c442, v122
	v_fmac_f32_e32 v163, 0xbf7ee86f, v122
	v_add_f32_e32 v35, v152, v35
	v_fmamk_f32 v152, v51, 0xbf59a7d5, v214
	v_fmac_f32_e32 v165, 0xbeb8f4ab, v122
	v_fmac_f32_e32 v167, 0x3f2c7751, v122
	;; [unrolled: 1-line block ×4, first 2 shown]
	v_add_f32_e32 v35, v152, v35
	v_fmamk_f32 v152, v56, 0xbf1a4643, v215
	v_fmac_f32_e32 v207, 0x3eb8f4ab, v123
	v_fmac_f32_e32 v208, 0xbf65296c, v124
	;; [unrolled: 1-line block ×4, first 2 shown]
	v_add_f32_e32 v152, v152, v35
	v_fmamk_f32 v35, v127, 0xbf2c7751, v216
	v_fmac_f32_e32 v216, 0x3f2c7751, v127
	v_mul_f32_e32 v132, 0x3f06c442, v132
	v_mul_f32_e32 v137, 0x3f763a35, v137
	v_mul_f32_e32 v143, 0x3f65296c, v143
	v_add_f32_e32 v35, v35, v34
	v_fmamk_f32 v34, v58, 0x3f3d2fb0, v217
	v_mul_f32_e32 v148, 0x3eb8f4ab, v148
	v_fmac_f32_e32 v192, 0xbf4c4adb, v121
	v_add_f32_e32 v119, v176, v119
	v_fmac_f32_e32 v193, 0x3e3c28d5, v122
	v_add_f32_e32 v34, v34, v152
	v_fmamk_f32 v152, v121, 0xbf06c442, v166
	v_fmac_f32_e32 v166, 0x3f06c442, v121
	v_add_f32_e32 v118, v119, v118
	v_fmac_f32_e32 v194, 0x3f763a35, v123
	v_fmac_f32_e32 v195, 0x3f2c7751, v124
	v_add_f32_e32 v152, v152, v162
	v_mul_f32_e32 v162, 0x3ee437d1, v43
	v_add_f32_e32 v117, v118, v117
	v_fmac_f32_e32 v197, 0xbeb8f4ab, v125
	v_fmac_f32_e32 v199, 0xbf7ee86f, v126
	v_add_f32_e32 v152, v153, v152
	v_fmamk_f32 v153, v123, 0x3f65296c, v218
	v_fmac_f32_e32 v218, 0xbf65296c, v123
	v_add_f32_e32 v116, v117, v116
	v_fmac_f32_e32 v151, 0xbf06c442, v127
	v_add_f32_e32 v152, v153, v152
	v_fmamk_f32 v153, v124, 0x3e3c28d5, v219
	v_fmac_f32_e32 v219, 0xbe3c28d5, v124
	v_add_f32_e32 v115, v116, v115
	v_add_f32_e32 v152, v153, v152
	v_fmamk_f32 v153, v125, 0xbf7ee86f, v220
	v_fmac_f32_e32 v220, 0x3f7ee86f, v125
	v_add_f32_e32 v114, v115, v114
	;; [unrolled: 4-line block ×3, first 2 shown]
	v_fmamk_f32 v153, v38, 0xbf59a7d5, v222
	v_add_f32_e32 v153, v153, v174
	v_mul_f32_e32 v174, 0x3f2c7751, v129
	v_fmamk_f32 v154, v39, 0x3f3d2fb0, v174
	v_add_f32_e32 v153, v154, v153
	v_fmamk_f32 v154, v44, 0x3ee437d1, v223
	v_add_f32_e32 v153, v154, v153
	;; [unrolled: 2-line block ×5, first 2 shown]
	v_fmamk_f32 v153, v127, 0x3f4c4adb, v227
	v_fmac_f32_e32 v227, 0xbf4c4adb, v127
	v_add_f32_e32 v153, v153, v152
	v_fmamk_f32 v152, v58, 0xbf1a4643, v228
	v_add_f32_e32 v152, v152, v154
	v_fmamk_f32 v154, v121, 0xbf763a35, v164
	v_fmac_f32_e32 v164, 0x3f763a35, v121
	v_add_f32_e32 v154, v154, v160
	v_mul_f32_e32 v160, 0x3f6eb680, v43
	v_add_f32_e32 v154, v155, v154
	v_fmamk_f32 v155, v123, 0x3f06c442, v229
	v_fmac_f32_e32 v229, 0xbf06c442, v123
	v_add_f32_e32 v154, v155, v154
	v_fmamk_f32 v155, v124, 0xbf7ee86f, v230
	v_fmac_f32_e32 v230, 0x3f7ee86f, v124
	;; [unrolled: 3-line block ×4, first 2 shown]
	v_add_f32_e32 v154, v155, v154
	v_fmamk_f32 v155, v38, 0xbe8c1d8e, v233
	v_add_f32_e32 v155, v155, v172
	v_mul_f32_e32 v172, 0xbeb8f4ab, v129
	v_fmamk_f32 v156, v39, 0x3f6eb680, v172
	v_add_f32_e32 v155, v156, v155
	v_fmamk_f32 v156, v44, 0xbf59a7d5, v234
	v_add_f32_e32 v155, v156, v155
	;; [unrolled: 2-line block ×5, first 2 shown]
	v_fmamk_f32 v155, v127, 0xbf65296c, v238
	v_fmac_f32_e32 v238, 0x3f65296c, v127
	v_add_f32_e32 v155, v155, v154
	v_fmamk_f32 v154, v58, 0x3ee437d1, v239
	v_add_f32_e32 v154, v154, v156
	v_fmamk_f32 v156, v121, 0xbf65296c, v162
	v_fmac_f32_e32 v162, 0x3f65296c, v121
	v_add_f32_e32 v156, v156, v158
	v_add_f32_e32 v156, v157, v156
	v_fmamk_f32 v157, v123, 0xbf4c4adb, v240
	v_fmac_f32_e32 v240, 0x3f4c4adb, v123
	v_add_f32_e32 v156, v157, v156
	v_fmamk_f32 v157, v124, 0x3eb8f4ab, v241
	v_fmac_f32_e32 v241, 0xbeb8f4ab, v124
	;; [unrolled: 3-line block ×4, first 2 shown]
	v_add_f32_e32 v156, v157, v156
	v_fmamk_f32 v157, v38, 0x3ee437d1, v244
	v_add_f32_e32 v157, v157, v170
	v_mul_f32_e32 v170, 0xbf7ee86f, v129
	v_fmamk_f32 v158, v39, 0x3dbcf732, v170
	v_add_f32_e32 v157, v158, v157
	v_fmamk_f32 v158, v44, 0xbf1a4643, v245
	v_add_f32_e32 v157, v158, v157
	;; [unrolled: 2-line block ×5, first 2 shown]
	v_fmamk_f32 v157, v127, 0x3f763a35, v249
	v_fmac_f32_e32 v249, 0xbf763a35, v127
	v_add_f32_e32 v157, v157, v156
	v_fmamk_f32 v156, v58, 0xbe8c1d8e, v250
	v_add_f32_e32 v156, v156, v158
	v_fmamk_f32 v158, v121, 0xbeb8f4ab, v160
	v_fmac_f32_e32 v160, 0x3eb8f4ab, v121
	v_add_f32_e32 v158, v158, v178
	v_mul_f32_e32 v178, 0x3f3d2fb0, v47
	v_add_f32_e32 v158, v159, v158
	v_fmamk_f32 v159, v123, 0xbf2c7751, v178
	v_fmac_f32_e32 v178, 0x3f2c7751, v123
	v_add_f32_e32 v158, v159, v158
	v_fmamk_f32 v159, v124, 0x3f4c4adb, v251
	v_fmac_f32_e32 v251, 0xbf4c4adb, v124
	;; [unrolled: 3-line block ×4, first 2 shown]
	v_add_f32_e32 v158, v159, v158
	v_fmamk_f32 v159, v38, 0x3f6eb680, v254
	v_add_f32_e32 v159, v159, v168
	v_mul_f32_e32 v168, 0xbf06c442, v129
	v_fmamk_f32 v255, v39, 0xbf59a7d5, v168
	v_add_f32_e32 v159, v255, v159
	v_mul_f32_e32 v255, 0x3f2c7751, v130
	v_fmamk_f32 v101, v44, 0x3f3d2fb0, v255
	v_add_f32_e32 v101, v101, v159
	v_fmamk_f32 v159, v46, 0xbf1a4643, v131
	v_fma_f32 v131, 0xbf1a4643, v46, -v131
	v_add_f32_e32 v101, v159, v101
	v_fmamk_f32 v159, v51, 0x3ee437d1, v133
	v_fma_f32 v133, 0x3ee437d1, v51, -v133
	v_add_f32_e32 v101, v159, v101
	v_fmamk_f32 v159, v56, 0xbe8c1d8e, v134
	v_add_f32_e32 v101, v159, v101
	v_fmamk_f32 v159, v127, 0xbf7ee86f, v135
	v_fmac_f32_e32 v135, 0x3f7ee86f, v127
	v_add_f32_e32 v159, v159, v158
	v_fmamk_f32 v158, v58, 0x3dbcf732, v136
	v_add_f32_e32 v158, v158, v101
	v_add_f32_e32 v101, v160, v180
	v_fma_f32 v160, 0x3f6eb680, v38, -v254
	v_add_f32_e32 v101, v161, v101
	v_add_f32_e32 v160, v160, v181
	v_fma_f32 v161, 0xbf59a7d5, v39, -v168
	;; [unrolled: 3-line block ×3, first 2 shown]
	v_add_f32_e32 v101, v251, v101
	v_add_f32_e32 v160, v161, v160
	;; [unrolled: 1-line block ×6, first 2 shown]
	v_fma_f32 v133, 0xbe8c1d8e, v56, -v134
	v_add_f32_e32 v161, v135, v101
	v_add_f32_e32 v101, v162, v182
	v_mul_f32_e32 v135, 0xbe3c28d5, v123
	v_add_f32_e32 v131, v133, v131
	v_fma_f32 v133, 0x3dbcf732, v58, -v136
	v_add_f32_e32 v101, v163, v101
	v_fmamk_f32 v136, v47, 0xbf7ba420, v135
	v_add_f32_e32 v160, v133, v131
	v_fma_f32 v131, 0x3ee437d1, v38, -v244
	v_fma_f32 v133, 0x3dbcf732, v39, -v170
	v_add_f32_e32 v101, v240, v101
	v_mul_f32_e32 v170, 0x3f06c442, v124
	v_add_f32_e32 v131, v131, v169
	v_add_f32_e32 v101, v241, v101
	;; [unrolled: 1-line block ×3, first 2 shown]
	v_fma_f32 v133, 0xbf1a4643, v44, -v245
	v_add_f32_e32 v101, v242, v101
	v_add_f32_e32 v131, v133, v131
	v_fma_f32 v133, 0x3f6eb680, v46, -v246
	v_add_f32_e32 v101, v243, v101
	v_add_f32_e32 v131, v133, v131
	v_fma_f32 v133, 0xbf7ba420, v51, -v247
	v_add_f32_e32 v163, v249, v101
	v_add_f32_e32 v101, v164, v183
	v_add_f32_e32 v131, v133, v131
	v_fma_f32 v133, 0x3f3d2fb0, v56, -v248
	v_add_f32_e32 v101, v165, v101
	v_add_f32_e32 v131, v133, v131
	v_fma_f32 v133, 0xbe8c1d8e, v58, -v250
	v_add_f32_e32 v101, v229, v101
	v_add_f32_e32 v162, v133, v131
	v_fma_f32 v131, 0xbe8c1d8e, v38, -v233
	v_fma_f32 v133, 0x3f6eb680, v39, -v172
	v_add_f32_e32 v101, v230, v101
	v_mul_f32_e32 v172, 0x3f763a35, v125
	v_add_f32_e32 v131, v131, v171
	v_mul_f32_e32 v171, 0xbe3c28d5, v130
	v_add_f32_e32 v101, v231, v101
	v_add_f32_e32 v131, v133, v131
	v_fma_f32 v133, 0xbf59a7d5, v44, -v234
	v_add_f32_e32 v101, v232, v101
	v_fma_f32 v130, 0xbf7ba420, v44, -v171
	v_fmac_f32_e32 v171, 0xbf7ba420, v44
	v_add_f32_e32 v131, v133, v131
	v_fma_f32 v133, 0x3dbcf732, v46, -v235
	v_add_f32_e32 v165, v238, v101
	v_add_f32_e32 v101, v166, v184
	;; [unrolled: 1-line block ×3, first 2 shown]
	v_fma_f32 v133, 0x3f3d2fb0, v51, -v236
	v_add_f32_e32 v101, v167, v101
	v_add_f32_e32 v131, v133, v131
	v_fma_f32 v133, 0xbf7ba420, v56, -v237
	v_add_f32_e32 v101, v218, v101
	v_add_f32_e32 v131, v133, v131
	;; [unrolled: 3-line block ×3, first 2 shown]
	v_fma_f32 v131, 0xbf59a7d5, v38, -v222
	v_fma_f32 v133, 0x3f3d2fb0, v39, -v174
	v_add_f32_e32 v101, v220, v101
	v_mul_f32_e32 v174, 0x3eb8f4ab, v127
	v_add_f32_e32 v131, v131, v173
	v_mul_f32_e32 v173, 0x3f65296c, v126
	v_add_f32_e32 v101, v221, v101
	v_add_f32_e32 v131, v133, v131
	v_fma_f32 v133, 0x3ee437d1, v44, -v223
	v_add_f32_e32 v167, v227, v101
	v_add_f32_e32 v101, v205, v185
	;; [unrolled: 1-line block ×3, first 2 shown]
	v_fma_f32 v133, 0xbf7ba420, v46, -v224
	v_add_f32_e32 v101, v206, v101
	v_add_f32_e32 v131, v133, v131
	v_fma_f32 v133, 0x3dbcf732, v51, -v225
	v_add_f32_e32 v101, v207, v101
	v_add_f32_e32 v131, v133, v131
	;; [unrolled: 3-line block ×3, first 2 shown]
	v_fma_f32 v133, 0xbf1a4643, v58, -v228
	v_add_f32_e32 v101, v209, v101
	v_mov_b32_e32 v209, v138
	v_add_f32_e32 v166, v133, v131
	v_fma_f32 v131, 0xbf7ba420, v38, -v211
	v_fma_f32 v133, 0xbe8c1d8e, v39, -v177
	v_add_f32_e32 v101, v210, v101
	v_add_f32_e32 v131, v131, v175
	;; [unrolled: 1-line block ×3, first 2 shown]
	v_mul_f32_e32 v101, 0xbf7ee86f, v121
	v_add_f32_e32 v131, v133, v131
	v_fma_f32 v133, 0x3f6eb680, v44, -v212
	v_add_f32_e32 v131, v133, v131
	v_fma_f32 v133, 0x3ee437d1, v46, -v213
	;; [unrolled: 2-line block ×5, first 2 shown]
	v_add_f32_e32 v168, v133, v131
	v_fmamk_f32 v131, v43, 0x3dbcf732, v101
	v_mul_f32_e32 v133, 0xbf4c4adb, v122
	v_add_f32_e32 v131, v131, v187
	v_fmamk_f32 v134, v45, 0xbf1a4643, v133
	v_add_f32_e32 v131, v134, v131
	v_mul_f32_e32 v134, 0xbf7ee86f, v128
	v_add_f32_e32 v131, v136, v131
	v_fma_f32 v128, 0x3dbcf732, v38, -v134
	v_mul_f32_e32 v136, 0xbf4c4adb, v129
	v_fmac_f32_e32 v134, 0x3dbcf732, v38
	v_add_f32_e32 v128, v128, v179
	v_fma_f32 v129, 0xbf1a4643, v39, -v136
	v_fmac_f32_e32 v136, 0xbf1a4643, v39
	v_add_f32_e32 v128, v129, v128
	v_fmamk_f32 v129, v55, 0xbf59a7d5, v170
	v_add_f32_e32 v128, v130, v128
	v_add_f32_e32 v129, v129, v131
	v_fmamk_f32 v130, v57, 0xbe8c1d8e, v172
	v_mul_f32_e32 v131, 0x3f3d2fb0, v38
	v_add_f32_e32 v129, v130, v129
	v_fma_f32 v130, 0xbf59a7d5, v46, -v132
	v_sub_f32_e32 v131, v131, v140
	v_fmac_f32_e32 v132, 0xbf59a7d5, v46
	v_add_f32_e32 v128, v130, v128
	v_fmamk_f32 v130, v59, 0x3ee437d1, v173
	v_add_f32_e32 v131, v131, v42
	v_add_f32_e32 v129, v130, v129
	v_fma_f32 v130, 0xbe8c1d8e, v51, -v137
	v_fmac_f32_e32 v137, 0xbe8c1d8e, v51
	v_add_f32_e32 v128, v130, v128
	v_fma_f32 v130, 0x3ee437d1, v56, -v143
	v_fmac_f32_e32 v143, 0x3ee437d1, v56
	v_add_f32_e32 v128, v130, v128
	v_fmamk_f32 v130, v63, 0x3f6eb680, v174
	v_add_f32_e32 v129, v130, v129
	v_fma_f32 v130, 0x3f6eb680, v58, -v148
	v_fmac_f32_e32 v148, 0x3f6eb680, v58
	v_add_f32_e32 v128, v130, v128
	v_mul_f32_e32 v130, 0x3f3d2fb0, v43
	v_fma_f32 v43, 0x3dbcf732, v43, -v101
	v_add_f32_e32 v130, v144, v130
	v_mul_f32_e32 v144, 0x3ee437d1, v45
	v_fma_f32 v45, 0xbf1a4643, v45, -v133
	v_add_f32_e32 v130, v130, v188
	v_add_f32_e32 v144, v145, v144
	v_mul_f32_e32 v145, 0x3ee437d1, v39
	v_add_f32_e32 v130, v144, v130
	v_mul_f32_e32 v144, 0x3dbcf732, v47
	v_sub_f32_e32 v140, v145, v141
	v_add_f32_e32 v141, v190, v144
	v_add_f32_e32 v131, v140, v131
	v_mul_f32_e32 v140, 0x3dbcf732, v44
	v_add_f32_e32 v130, v141, v130
	v_mul_f32_e32 v141, 0xbe8c1d8e, v55
	v_sub_f32_e32 v140, v140, v147
	v_add_f32_e32 v141, v99, v141
	v_mov_b32_e32 v99, v36
	buffer_load_dword v36, off, s[20:23], 0 offset:16 ; 4-byte Folded Reload
	v_add_f32_e32 v131, v140, v131
	v_mul_f32_e32 v140, 0xbe8c1d8e, v46
	v_add_f32_e32 v130, v141, v130
	v_mul_f32_e32 v141, 0xbf1a4643, v57
	v_sub_f32_e32 v140, v140, v142
	v_add_f32_e32 v138, v186, v141
	v_add_f32_e32 v131, v140, v131
	v_mul_f32_e32 v140, 0xbf1a4643, v51
	v_add_f32_e32 v130, v138, v130
	v_mul_f32_e32 v138, 0xbf59a7d5, v59
	v_sub_f32_e32 v140, v140, v139
	v_add_f32_e32 v138, v104, v138
	;; [unrolled: 6-line block ×3, first 2 shown]
	v_add_f32_e32 v140, v140, v131
	v_mul_f32_e32 v131, 0xbf7ba420, v58
	v_sub_f32_e32 v139, v131, v191
	v_add_f32_e32 v131, v138, v130
	v_add_f32_e32 v130, v139, v140
	s_waitcnt vmcnt(0)
	v_add_f32_e32 v121, v192, v36
	buffer_load_dword v36, off, s[20:23], 0 offset:20 ; 4-byte Folded Reload
	s_waitcnt vmcnt(0)
	v_add_f32_e32 v119, v36, v120
	buffer_load_dword v36, off, s[20:23], 0 offset:12 ; 4-byte Folded Reload
	v_add_f32_e32 v120, v193, v121
	v_add_f32_e32 v62, v119, v62
	;; [unrolled: 1-line block ×4, first 2 shown]
	v_fma_f32 v62, 0xbf1a4643, v38, -v196
	v_add_f32_e32 v117, v195, v118
	v_add_f32_e32 v60, v61, v60
	v_fma_f32 v61, 0xbf7ba420, v39, -v198
	v_add_f32_e32 v54, v60, v54
	v_fma_f32 v60, 0xbe8c1d8e, v44, -v200
	;; [unrolled: 2-line block ×5, first 2 shown]
	v_add_f32_e32 v49, v50, v49
	v_add_f32_e32 v50, v134, v150
	s_waitcnt vmcnt(0)
	v_add_f32_e32 v62, v62, v36
	buffer_load_dword v36, off, s[20:23], 0 offset:8 ; 4-byte Folded Reload
	v_add_f32_e32 v61, v61, v62
	v_add_f32_e32 v62, v197, v117
	;; [unrolled: 1-line block ×14, first 2 shown]
	s_waitcnt vmcnt(0)
	v_add_f32_e32 v43, v43, v36
	buffer_load_dword v36, off, s[20:23], 0 offset:4 ; 4-byte Folded Reload
	v_add_f32_e32 v43, v45, v43
	v_fma_f32 v45, 0xbf7ba420, v47, -v135
	v_add_f32_e32 v47, v136, v50
	v_add_f32_e32 v42, v45, v43
	v_fma_f32 v43, 0xbf59a7d5, v55, -v170
	v_add_f32_e32 v44, v171, v47
	v_fma_f32 v45, 0xbf59a7d5, v58, -v204
	;; [unrolled: 2-line block ×3, first 2 shown]
	v_add_f32_e32 v43, v132, v44
	v_add_f32_e32 v44, v38, v106
	v_add_f32_e32 v38, v151, v61
	v_add_f32_e32 v41, v42, v41
	v_fma_f32 v42, 0x3ee437d1, v59, -v173
	v_add_f32_e32 v43, v137, v43
	v_add_f32_e32 v41, v42, v41
	v_fma_f32 v42, 0x3f6eb680, v63, -v174
	v_add_f32_e32 v43, v143, v43
	v_add_f32_e32 v42, v42, v41
	;; [unrolled: 1-line block ×3, first 2 shown]
	s_waitcnt vmcnt(0)
	v_add_f32_e32 v39, v49, v36
	buffer_load_dword v36, off, s[20:23], 0 ; 4-byte Folded Reload
	v_add_f32_e32 v39, v39, v40
	v_add_f32_e32 v40, v44, v105
	;; [unrolled: 1-line block ×4, first 2 shown]
	s_waitcnt vmcnt(0)
	v_add_f32_e32 v37, v39, v36
	v_lshl_add_u32 v36, v99, 3, v209
	v_add_f32_e32 v39, v37, v149
	v_add_f32_e32 v37, v45, v52
	ds_write_b64 v189, v[39:40]
	ds_write2_b64 v36, v[130:131], v[128:129] offset0:16 offset1:32
	ds_write2_b64 v36, v[37:38], v[168:169] offset0:48 offset1:64
	;; [unrolled: 1-line block ×3, first 2 shown]
	v_add_nc_u32_e32 v37, 0x400, v36
	ds_write2_b64 v36, v[162:163], v[160:161] offset0:112 offset1:128
	ds_write2_b64 v36, v[158:159], v[156:157] offset0:144 offset1:160
	;; [unrolled: 1-line block ×5, first 2 shown]
.LBB0_5:
	s_or_b32 exec_lo, exec_lo, s2
	v_add_co_u32 v34, s0, s0, v103
	v_add_co_ci_u32_e64 v35, null, s1, 0, s0
	s_waitcnt lgkmcnt(0)
	s_waitcnt_vscnt null, 0x0
	v_add_co_u32 v32, s0, 0x800, v34
	v_add_co_ci_u32_e64 v33, s0, 0, v35, s0
	v_add_co_u32 v34, s0, 0x880, v34
	v_add_co_ci_u32_e64 v35, s0, 0, v35, s0
	s_barrier
	buffer_gl0_inv
	s_clause 0xf
	global_load_dwordx2 v[36:37], v[32:33], off offset:128
	global_load_dwordx2 v[38:39], v[34:35], off offset:136
	;; [unrolled: 1-line block ×16, first 2 shown]
	ds_read2_b64 v[32:35], v100 offset1:17
	s_waitcnt vmcnt(15) lgkmcnt(0)
	v_mul_f32_e32 v41, v33, v37
	v_mul_f32_e32 v40, v32, v37
	s_waitcnt vmcnt(14)
	v_mul_f32_e32 v42, v35, v39
	v_mul_f32_e32 v37, v34, v39
	v_fma_f32 v39, v32, v36, -v41
	v_fmac_f32_e32 v40, v33, v36
	v_fma_f32 v36, v34, v38, -v42
	v_fmac_f32_e32 v37, v35, v38
	ds_write2_b64 v100, v[39:40], v[36:37] offset1:17
	ds_read2_b64 v[32:35], v100 offset0:34 offset1:51
	ds_read2_b64 v[36:39], v100 offset0:68 offset1:85
	;; [unrolled: 1-line block ×7, first 2 shown]
	s_waitcnt vmcnt(13) lgkmcnt(6)
	v_mul_f32_e32 v101, v33, v61
	v_mul_f32_e32 v127, v32, v61
	s_waitcnt vmcnt(12)
	v_mul_f32_e32 v128, v35, v63
	v_mul_f32_e32 v61, v34, v63
	s_waitcnt vmcnt(11) lgkmcnt(5)
	v_mul_f32_e32 v129, v37, v104
	v_mul_f32_e32 v63, v36, v104
	s_waitcnt vmcnt(10)
	v_mul_f32_e32 v130, v39, v106
	v_mul_f32_e32 v104, v38, v106
	;; [unrolled: 6-line block ×7, first 2 shown]
	v_fma_f32 v126, v32, v60, -v101
	v_fmac_f32_e32 v127, v33, v60
	v_fma_f32 v60, v34, v62, -v128
	v_fmac_f32_e32 v61, v35, v62
	;; [unrolled: 2-line block ×14, first 2 shown]
	ds_write2_b64 v100, v[126:127], v[60:61] offset0:34 offset1:51
	ds_write2_b64 v100, v[62:63], v[103:104] offset0:68 offset1:85
	;; [unrolled: 1-line block ×7, first 2 shown]
	s_waitcnt lgkmcnt(0)
	s_barrier
	buffer_gl0_inv
	ds_read2_b64 v[32:35], v100 offset1:17
	ds_read2_b64 v[36:39], v100 offset0:136 offset1:153
	ds_read2_b64 v[40:43], v100 offset0:68 offset1:85
	;; [unrolled: 1-line block ×7, first 2 shown]
	s_waitcnt lgkmcnt(0)
	s_barrier
	buffer_gl0_inv
	v_sub_f32_e32 v36, v32, v36
	v_sub_f32_e32 v37, v33, v37
	;; [unrolled: 1-line block ×16, first 2 shown]
	v_fma_f32 v40, v40, 2.0, -v44
	v_fma_f32 v41, v41, 2.0, -v45
	;; [unrolled: 1-line block ×8, first 2 shown]
	v_add_f32_e32 v45, v36, v45
	v_sub_f32_e32 v44, v37, v44
	v_add_f32_e32 v61, v52, v61
	v_sub_f32_e32 v60, v53, v60
	;; [unrolled: 2-line block ×4, first 2 shown]
	v_fma_f32 v32, v32, 2.0, -v36
	v_fma_f32 v33, v33, 2.0, -v37
	;; [unrolled: 1-line block ×16, first 2 shown]
	v_fmamk_f32 v101, v61, 0x3f3504f3, v45
	v_fmamk_f32 v103, v60, 0x3f3504f3, v44
	v_sub_f32_e32 v40, v32, v40
	v_sub_f32_e32 v41, v33, v41
	;; [unrolled: 1-line block ×8, first 2 shown]
	v_fmamk_f32 v104, v63, 0x3f3504f3, v47
	v_fmamk_f32 v105, v62, 0x3f3504f3, v46
	;; [unrolled: 1-line block ×4, first 2 shown]
	v_fmac_f32_e32 v101, 0x3f3504f3, v60
	v_fmac_f32_e32 v103, 0xbf3504f3, v61
	v_fmamk_f32 v60, v54, 0xbf3504f3, v38
	v_fmamk_f32 v61, v55, 0xbf3504f3, v39
	v_fma_f32 v32, v32, 2.0, -v40
	v_fma_f32 v33, v33, 2.0, -v41
	;; [unrolled: 1-line block ×8, first 2 shown]
	v_add_f32_e32 v108, v40, v57
	v_sub_f32_e32 v109, v41, v56
	v_add_f32_e32 v110, v42, v59
	v_sub_f32_e32 v111, v43, v58
	v_fmac_f32_e32 v104, 0x3f3504f3, v62
	v_fmac_f32_e32 v105, 0xbf3504f3, v63
	;; [unrolled: 1-line block ×6, first 2 shown]
	v_sub_f32_e32 v48, v32, v48
	v_sub_f32_e32 v49, v33, v49
	v_fma_f32 v62, v40, 2.0, -v108
	v_fma_f32 v63, v41, 2.0, -v109
	;; [unrolled: 1-line block ×4, first 2 shown]
	v_sub_f32_e32 v44, v34, v50
	v_sub_f32_e32 v45, v35, v51
	v_fma_f32 v50, v42, 2.0, -v110
	v_fma_f32 v51, v43, 2.0, -v111
	;; [unrolled: 1-line block ×8, first 2 shown]
	v_fmamk_f32 v56, v110, 0x3f3504f3, v108
	v_fmamk_f32 v57, v111, 0x3f3504f3, v109
	;; [unrolled: 1-line block ×4, first 2 shown]
	v_fma_f32 v32, v32, 2.0, -v48
	v_fma_f32 v33, v33, 2.0, -v49
	;; [unrolled: 1-line block ×4, first 2 shown]
	v_fmamk_f32 v40, v50, 0xbf3504f3, v62
	v_fmamk_f32 v41, v51, 0xbf3504f3, v63
	;; [unrolled: 1-line block ×8, first 2 shown]
	v_add_f32_e32 v52, v48, v45
	v_sub_f32_e32 v53, v49, v44
	v_fmac_f32_e32 v56, 0x3f3504f3, v111
	v_fmac_f32_e32 v57, 0xbf3504f3, v110
	;; [unrolled: 1-line block ×4, first 2 shown]
	v_sub_f32_e32 v36, v32, v34
	v_sub_f32_e32 v37, v33, v35
	v_fmac_f32_e32 v40, 0x3f3504f3, v51
	v_fmac_f32_e32 v41, 0xbf3504f3, v50
	;; [unrolled: 1-line block ×8, first 2 shown]
	v_fma_f32 v48, v48, 2.0, -v52
	v_fma_f32 v49, v49, 2.0, -v53
	v_fma_f32 v44, v108, 2.0, -v56
	v_fma_f32 v45, v109, 2.0, -v57
	v_fma_f32 v46, v101, 2.0, -v58
	v_fma_f32 v47, v103, 2.0, -v59
	v_fma_f32 v32, v32, 2.0, -v36
	v_fma_f32 v33, v33, 2.0, -v37
	v_fma_f32 v60, v62, 2.0, -v40
	v_fma_f32 v61, v63, 2.0, -v41
	v_fma_f32 v62, v112, 2.0, -v42
	v_fma_f32 v63, v113, 2.0, -v43
	v_fma_f32 v50, v106, 2.0, -v54
	v_fma_f32 v51, v107, 2.0, -v55
	v_fma_f32 v34, v114, 2.0, -v38
	v_fma_f32 v35, v115, 2.0, -v39
	ds_write_b128 v102, v[56:59] offset:112
	ds_write_b128 v102, v[44:47] offset:48
	;; [unrolled: 1-line block ×7, first 2 shown]
	ds_write_b128 v102, v[32:35]
	s_waitcnt lgkmcnt(0)
	s_barrier
	buffer_gl0_inv
	s_and_saveexec_b32 s0, vcc_lo
	s_cbranch_execz .LBB0_7
; %bb.6:
	ds_read2_b64 v[32:35], v100 offset1:16
	ds_read2_b64 v[60:63], v100 offset0:32 offset1:48
	ds_read2_b64 v[48:51], v100 offset0:64 offset1:80
	;; [unrolled: 1-line block ×7, first 2 shown]
	ds_read_b64 v[97:98], v100 offset:2048
.LBB0_7:
	s_or_b32 exec_lo, exec_lo, s0
	s_and_saveexec_b32 s0, vcc_lo
	s_cbranch_execz .LBB0_9
; %bb.8:
	s_waitcnt lgkmcnt(8)
	v_mul_f32_e32 v103, v21, v35
	s_waitcnt lgkmcnt(0)
	v_mul_f32_e32 v102, v31, v98
	v_mul_f32_e32 v101, v31, v97
	;; [unrolled: 1-line block ×4, first 2 shown]
	v_fmac_f32_e32 v103, v20, v34
	v_fmac_f32_e32 v102, v30, v97
	v_mul_f32_e32 v34, v23, v61
	v_fma_f32 v30, v30, v98, -v101
	v_fma_f32 v97, v20, v35, -v21
	v_mul_f32_e32 v35, v29, v58
	v_sub_f32_e32 v21, v103, v102
	v_fmac_f32_e32 v34, v22, v60
	v_fmac_f32_e32 v31, v28, v58
	v_mul_f32_e32 v23, v23, v60
	v_mul_f32_e32 v58, v13, v63
	v_mul_f32_e32 v29, v27, v57
	v_add_f32_e32 v98, v30, v97
	v_mul_f32_e32 v120, 0xbf65296c, v21
	v_sub_f32_e32 v20, v34, v31
	v_fma_f32 v28, v28, v59, -v35
	v_fma_f32 v59, v22, v61, -v23
	v_fmac_f32_e32 v58, v12, v62
	v_fmac_f32_e32 v29, v26, v56
	v_mul_f32_e32 v23, v27, v56
	v_mul_f32_e32 v13, v13, v62
	v_fmamk_f32 v60, v98, 0x3ee437d1, v120
	v_mul_f32_e32 v121, 0xbf4c4adb, v20
	v_add_f32_e32 v61, v28, v59
	v_sub_f32_e32 v22, v58, v29
	v_fma_f32 v26, v26, v57, -v23
	v_fma_f32 v56, v12, v63, -v13
	v_mul_f32_e32 v57, v15, v49
	v_mul_f32_e32 v27, v25, v55
	v_add_f32_e32 v12, v33, v60
	v_fmamk_f32 v13, v61, 0xbf1a4643, v121
	v_mul_f32_e32 v122, 0x3e3c28d5, v22
	v_add_f32_e32 v62, v26, v56
	v_fmac_f32_e32 v57, v14, v48
	v_fmac_f32_e32 v27, v24, v54
	v_mul_f32_e32 v25, v25, v54
	v_mul_f32_e32 v15, v15, v48
	;; [unrolled: 1-line block ×4, first 2 shown]
	v_add_f32_e32 v12, v13, v12
	v_fmamk_f32 v13, v62, 0xbf7ba420, v122
	v_sub_f32_e32 v23, v57, v27
	v_fma_f32 v35, v24, v55, -v25
	v_fma_f32 v55, v14, v49, -v15
	v_fmac_f32_e32 v54, v8, v50
	v_fmac_f32_e32 v48, v18, v52
	v_mul_f32_e32 v14, v19, v52
	v_mul_f32_e32 v9, v9, v50
	;; [unrolled: 1-line block ×5, first 2 shown]
	v_add_f32_e32 v109, v35, v55
	v_sub_f32_e32 v19, v54, v48
	v_fma_f32 v49, v18, v53, -v14
	v_fma_f32 v51, v8, v51, -v9
	v_add_f32_e32 v8, v13, v12
	v_fmac_f32_e32 v52, v10, v44
	v_fmac_f32_e32 v50, v16, v42
	v_mul_f32_e32 v12, v17, v42
	v_mul_f32_e32 v11, v11, v44
	;; [unrolled: 1-line block ×4, first 2 shown]
	v_fmamk_f32 v9, v109, 0xbe8c1d8e, v124
	v_mul_f32_e32 v123, 0x3f2c7751, v19
	v_add_f32_e32 v110, v49, v51
	v_sub_f32_e32 v18, v52, v50
	v_fma_f32 v43, v16, v43, -v12
	v_fma_f32 v60, v10, v45, -v11
	v_fmac_f32_e32 v53, v0, v46
	v_fmac_f32_e32 v44, v6, v40
	v_mul_f32_e32 v7, v7, v40
	v_mul_f32_e32 v1, v1, v46
	v_add_f32_e32 v8, v9, v8
	v_fmamk_f32 v9, v110, 0x3f3d2fb0, v123
	v_mul_f32_e32 v125, 0xbeb8f4ab, v18
	v_add_f32_e32 v104, v43, v60
	v_sub_f32_e32 v24, v53, v44
	v_fma_f32 v46, v6, v41, -v7
	v_fma_f32 v47, v0, v47, -v1
	v_add_f32_e32 v0, v9, v8
	v_fmamk_f32 v1, v104, 0x3f6eb680, v125
	v_mul_f32_e32 v126, 0xbf7ee86f, v24
	v_sub_f32_e32 v108, v97, v30
	v_add_f32_e32 v63, v46, v47
	v_add_f32_e32 v40, v102, v103
	;; [unrolled: 1-line block ×3, first 2 shown]
	v_sub_f32_e32 v111, v59, v28
	v_mul_f32_e32 v131, 0xbf65296c, v108
	v_fmamk_f32 v1, v63, 0x3dbcf732, v126
	v_add_f32_e32 v41, v31, v34
	v_sub_f32_e32 v112, v56, v26
	v_mul_f32_e32 v134, 0xbf4c4adb, v111
	v_mul_f32_e32 v105, v5, v39
	v_add_f32_e32 v0, v1, v0
	v_fma_f32 v1, 0x3ee437d1, v40, -v131
	v_add_f32_e32 v42, v29, v58
	v_fma_f32 v6, 0xbf1a4643, v41, -v134
	v_mul_f32_e32 v127, 0x3e3c28d5, v112
	v_sub_f32_e32 v115, v55, v35
	v_add_f32_e32 v1, v32, v1
	v_mul_f32_e32 v106, v3, v37
	v_fmac_f32_e32 v105, v4, v38
	v_mul_f32_e32 v5, v5, v38
	v_add_f32_e32 v38, v27, v57
	v_add_f32_e32 v1, v6, v1
	v_fma_f32 v6, 0xbf7ba420, v42, -v127
	v_mul_f32_e32 v128, 0x3f763a35, v115
	v_sub_f32_e32 v107, v51, v49
	v_fmac_f32_e32 v106, v2, v36
	v_fma_f32 v114, v4, v39, -v5
	v_mul_f32_e32 v3, v3, v36
	v_add_f32_e32 v1, v6, v1
	v_fma_f32 v4, 0xbe8c1d8e, v38, -v128
	v_add_f32_e32 v36, v48, v54
	v_mul_f32_e32 v129, 0x3f2c7751, v107
	v_fma_f32 v117, v2, v37, -v3
	v_sub_f32_e32 v113, v60, v43
	v_add_f32_e32 v1, v4, v1
	v_mul_f32_e32 v144, 0xbf7ee86f, v21
	v_fma_f32 v2, 0x3f3d2fb0, v36, -v129
	v_sub_f32_e32 v25, v106, v105
	v_add_f32_e32 v37, v50, v52
	v_mul_f32_e32 v135, 0xbeb8f4ab, v113
	v_sub_f32_e32 v116, v47, v46
	v_add_f32_e32 v1, v2, v1
	v_fmamk_f32 v2, v98, 0x3dbcf732, v144
	v_mul_f32_e32 v146, 0xbe3c28d5, v20
	v_mul_f32_e32 v133, 0xbf06c442, v25
	v_add_f32_e32 v119, v114, v117
	v_fma_f32 v3, 0x3f6eb680, v37, -v135
	v_add_f32_e32 v39, v44, v53
	v_mul_f32_e32 v132, 0xbf7ee86f, v116
	v_add_f32_e32 v2, v33, v2
	v_fmamk_f32 v4, v61, 0xbf7ba420, v146
	v_mul_f32_e32 v139, 0x3f763a35, v22
	v_fmamk_f32 v5, v119, 0xbf59a7d5, v133
	v_add_f32_e32 v3, v3, v1
	v_fma_f32 v6, 0x3dbcf732, v39, -v132
	v_add_f32_e32 v2, v4, v2
	v_fmamk_f32 v4, v62, 0xbe8c1d8e, v139
	v_mul_f32_e32 v140, 0x3eb8f4ab, v23
	v_add_f32_e32 v1, v5, v0
	v_add_f32_e32 v0, v6, v3
	v_sub_f32_e32 v118, v117, v114
	v_add_f32_e32 v2, v4, v2
	v_fmamk_f32 v3, v109, 0x3f6eb680, v140
	v_mul_f32_e32 v136, 0xbf65296c, v19
	v_mul_f32_e32 v150, 0xbf7ee86f, v108
	v_add_f32_e32 v45, v105, v106
	v_mul_f32_e32 v130, 0xbf06c442, v118
	v_add_f32_e32 v2, v3, v2
	v_fmamk_f32 v3, v110, 0x3ee437d1, v136
	v_mul_f32_e32 v137, 0xbf06c442, v18
	v_fma_f32 v5, 0x3dbcf732, v40, -v150
	v_mul_f32_e32 v151, 0xbe3c28d5, v111
	v_fma_f32 v4, 0xbf59a7d5, v45, -v130
	v_add_f32_e32 v2, v3, v2
	v_fmamk_f32 v3, v104, 0xbf59a7d5, v137
	v_mul_f32_e32 v138, 0x3f4c4adb, v24
	v_add_f32_e32 v5, v32, v5
	v_fma_f32 v6, 0xbf7ba420, v41, -v151
	v_mul_f32_e32 v143, 0x3f763a35, v112
	v_add_f32_e32 v2, v3, v2
	v_fmamk_f32 v3, v63, 0xbf1a4643, v138
	v_add_f32_e32 v0, v4, v0
	v_add_f32_e32 v4, v6, v5
	v_fma_f32 v5, 0xbe8c1d8e, v42, -v143
	v_mul_f32_e32 v145, 0x3eb8f4ab, v115
	v_mul_f32_e32 v16, 0xbf763a35, v21
	v_add_f32_e32 v2, v3, v2
	v_mul_f32_e32 v149, 0xbf65296c, v107
	v_add_f32_e32 v3, v5, v4
	v_fma_f32 v4, 0x3f6eb680, v38, -v145
	v_fmamk_f32 v6, v98, 0xbe8c1d8e, v16
	v_mul_f32_e32 v17, 0x3f06c442, v20
	v_mul_f32_e32 v142, 0x3f2c7751, v25
	;; [unrolled: 1-line block ×3, first 2 shown]
	v_add_f32_e32 v3, v4, v3
	v_fma_f32 v4, 0x3ee437d1, v36, -v149
	v_add_f32_e32 v6, v33, v6
	v_fmamk_f32 v7, v61, 0xbf59a7d5, v17
	v_mul_f32_e32 v101, 0x3f2c7751, v22
	v_fmamk_f32 v5, v119, 0x3f3d2fb0, v142
	v_add_f32_e32 v3, v4, v3
	v_fma_f32 v4, 0xbf59a7d5, v37, -v148
	v_add_f32_e32 v6, v7, v6
	v_fmamk_f32 v7, v62, 0x3f3d2fb0, v101
	v_mul_f32_e32 v152, 0xbf65296c, v23
	v_mul_f32_e32 v147, 0x3f4c4adb, v116
	v_add_f32_e32 v4, v4, v3
	v_add_f32_e32 v3, v5, v2
	;; [unrolled: 1-line block ×3, first 2 shown]
	v_fmamk_f32 v5, v109, 0x3ee437d1, v152
	v_mul_f32_e32 v153, 0xbe3c28d5, v19
	v_mul_f32_e32 v154, 0xbf763a35, v108
	v_fma_f32 v8, 0xbf1a4643, v39, -v147
	v_mul_f32_e32 v141, 0x3f2c7751, v118
	v_add_f32_e32 v2, v5, v2
	v_fmamk_f32 v5, v110, 0xbf7ba420, v153
	v_mul_f32_e32 v155, 0x3f7ee86f, v18
	v_fma_f32 v7, 0xbe8c1d8e, v40, -v154
	v_mul_f32_e32 v156, 0x3f06c442, v111
	v_add_f32_e32 v4, v8, v4
	v_fma_f32 v6, 0x3f3d2fb0, v45, -v141
	v_add_f32_e32 v2, v5, v2
	v_fmamk_f32 v5, v104, 0x3dbcf732, v155
	v_add_f32_e32 v7, v32, v7
	v_fma_f32 v8, 0xbf59a7d5, v41, -v156
	v_mul_f32_e32 v158, 0x3f2c7751, v112
	v_mul_f32_e32 v157, 0xbeb8f4ab, v24
	v_add_f32_e32 v5, v5, v2
	v_add_f32_e32 v2, v6, v4
	;; [unrolled: 1-line block ×3, first 2 shown]
	v_fma_f32 v6, 0x3f3d2fb0, v42, -v158
	v_mul_f32_e32 v159, 0xbf65296c, v115
	v_mul_f32_e32 v14, 0xbf4c4adb, v21
	v_fmamk_f32 v9, v63, 0x3f6eb680, v157
	v_mul_f32_e32 v161, 0xbe3c28d5, v107
	v_add_f32_e32 v4, v6, v4
	v_fma_f32 v6, 0x3ee437d1, v38, -v159
	v_fmamk_f32 v8, v98, 0xbf1a4643, v14
	v_mul_f32_e32 v15, 0x3f763a35, v20
	v_add_f32_e32 v5, v9, v5
	v_mul_f32_e32 v160, 0xbf4c4adb, v25
	v_add_f32_e32 v4, v6, v4
	v_fma_f32 v6, 0xbf7ba420, v36, -v161
	v_mul_f32_e32 v162, 0x3f7ee86f, v113
	v_add_f32_e32 v8, v33, v8
	v_fmamk_f32 v9, v61, 0xbe8c1d8e, v15
	v_mul_f32_e32 v163, 0xbeb8f4ab, v22
	v_fmamk_f32 v7, v119, 0xbf1a4643, v160
	v_add_f32_e32 v4, v6, v4
	v_fma_f32 v6, 0x3dbcf732, v37, -v162
	v_mul_f32_e32 v164, 0xbeb8f4ab, v116
	v_add_f32_e32 v8, v9, v8
	v_fmamk_f32 v9, v62, 0x3f6eb680, v163
	v_mul_f32_e32 v165, 0xbf06c442, v23
	v_add_f32_e32 v4, v6, v4
	v_fma_f32 v6, 0x3f6eb680, v39, -v164
	v_add_f32_e32 v5, v7, v5
	v_add_f32_e32 v7, v9, v8
	v_fmamk_f32 v8, v109, 0xbf59a7d5, v165
	v_mul_f32_e32 v166, 0x3f7ee86f, v19
	v_mul_f32_e32 v168, 0xbf4c4adb, v108
	v_add_f32_e32 v4, v6, v4
	v_mul_f32_e32 v167, 0xbf4c4adb, v118
	v_add_f32_e32 v6, v8, v7
	v_fmamk_f32 v7, v110, 0x3dbcf732, v166
	v_mul_f32_e32 v169, 0xbf2c7751, v18
	v_fma_f32 v9, 0xbf1a4643, v40, -v168
	v_mul_f32_e32 v170, 0x3f763a35, v111
	v_fma_f32 v8, 0xbf1a4643, v45, -v167
	v_add_f32_e32 v6, v7, v6
	v_fmamk_f32 v7, v104, 0x3f3d2fb0, v169
	v_mul_f32_e32 v171, 0xbe3c28d5, v24
	v_add_f32_e32 v9, v32, v9
	v_fma_f32 v10, 0xbe8c1d8e, v41, -v170
	v_mul_f32_e32 v172, 0xbeb8f4ab, v112
	v_add_f32_e32 v6, v7, v6
	v_fmamk_f32 v7, v63, 0xbf7ba420, v171
	v_add_f32_e32 v4, v8, v4
	v_add_f32_e32 v8, v10, v9
	v_fma_f32 v9, 0x3f6eb680, v42, -v172
	v_mul_f32_e32 v173, 0xbf06c442, v115
	v_mul_f32_e32 v12, 0xbf06c442, v21
	v_add_f32_e32 v6, v7, v6
	v_mul_f32_e32 v175, 0x3f7ee86f, v107
	v_add_f32_e32 v7, v9, v8
	v_fma_f32 v8, 0xbf59a7d5, v38, -v173
	v_fmamk_f32 v10, v98, 0xbf59a7d5, v12
	v_mul_f32_e32 v13, 0x3f65296c, v20
	v_mul_f32_e32 v174, 0x3f65296c, v25
	;; [unrolled: 1-line block ×3, first 2 shown]
	v_add_f32_e32 v7, v8, v7
	v_fma_f32 v8, 0x3dbcf732, v36, -v175
	v_add_f32_e32 v10, v33, v10
	v_fmamk_f32 v11, v61, 0x3ee437d1, v13
	v_mul_f32_e32 v177, 0xbf7ee86f, v22
	v_fmamk_f32 v9, v119, 0x3ee437d1, v174
	v_add_f32_e32 v7, v8, v7
	v_fma_f32 v8, 0x3f3d2fb0, v37, -v176
	v_mul_f32_e32 v178, 0xbe3c28d5, v116
	v_add_f32_e32 v10, v11, v10
	v_fmamk_f32 v11, v62, 0x3dbcf732, v177
	v_mul_f32_e32 v179, 0x3f4c4adb, v23
	v_add_f32_e32 v8, v8, v7
	v_fma_f32 v180, 0xbf7ba420, v39, -v178
	v_add_f32_e32 v7, v9, v6
	v_add_f32_e32 v6, v11, v10
	v_fmamk_f32 v9, v109, 0xbf1a4643, v179
	v_mul_f32_e32 v181, 0xbeb8f4ab, v19
	v_mul_f32_e32 v182, 0xbf06c442, v108
	v_add_f32_e32 v8, v180, v8
	v_mul_f32_e32 v180, 0x3f65296c, v118
	v_add_f32_e32 v6, v9, v6
	v_fmamk_f32 v9, v110, 0x3f6eb680, v181
	v_mul_f32_e32 v183, 0xbe3c28d5, v18
	v_fma_f32 v11, 0xbf59a7d5, v40, -v182
	v_mul_f32_e32 v184, 0x3f65296c, v111
	v_fma_f32 v10, 0x3ee437d1, v45, -v180
	v_add_f32_e32 v6, v9, v6
	v_fmamk_f32 v9, v104, 0xbf7ba420, v183
	v_add_f32_e32 v11, v32, v11
	v_fma_f32 v186, 0x3ee437d1, v41, -v184
	v_mul_f32_e32 v187, 0xbf7ee86f, v112
	v_mul_f32_e32 v185, 0x3f2c7751, v24
	v_add_f32_e32 v9, v9, v6
	v_add_f32_e32 v6, v10, v8
	v_add_f32_e32 v8, v186, v11
	v_fma_f32 v10, 0x3dbcf732, v42, -v187
	v_mul_f32_e32 v186, 0x3f4c4adb, v115
	v_mul_f32_e32 v11, 0xbe3c28d5, v21
	;; [unrolled: 1-line block ×3, first 2 shown]
	v_fmamk_f32 v188, v63, 0x3f3d2fb0, v185
	v_add_f32_e32 v8, v10, v8
	v_fma_f32 v10, 0xbf1a4643, v38, -v186
	v_fmamk_f32 v191, v98, 0xbf7ba420, v11
	v_mul_f32_e32 v192, 0x3eb8f4ab, v20
	v_mul_f32_e32 v193, 0xbe3c28d5, v113
	v_add_f32_e32 v9, v188, v9
	v_add_f32_e32 v8, v10, v8
	v_fma_f32 v10, 0x3f6eb680, v36, -v189
	v_mul_f32_e32 v188, 0xbf763a35, v25
	v_add_f32_e32 v191, v33, v191
	v_fmamk_f32 v194, v61, 0x3f6eb680, v192
	v_mul_f32_e32 v195, 0xbf06c442, v22
	v_add_f32_e32 v8, v10, v8
	v_fma_f32 v10, 0xbf7ba420, v37, -v193
	v_mul_f32_e32 v196, 0x3f2c7751, v116
	v_fmamk_f32 v190, v119, 0xbe8c1d8e, v188
	v_add_f32_e32 v191, v194, v191
	v_fmamk_f32 v194, v62, 0xbf59a7d5, v195
	v_mul_f32_e32 v197, 0x3f2c7751, v23
	v_add_f32_e32 v8, v10, v8
	v_fma_f32 v10, 0x3f3d2fb0, v39, -v196
	v_add_f32_e32 v9, v190, v9
	v_add_f32_e32 v190, v194, v191
	v_fmamk_f32 v191, v109, 0x3f3d2fb0, v197
	v_mul_f32_e32 v194, 0xbf4c4adb, v19
	v_add_f32_e32 v8, v10, v8
	v_mul_f32_e32 v10, 0xbe3c28d5, v108
	v_mul_f32_e32 v198, 0xbf763a35, v118
	v_add_f32_e32 v190, v191, v190
	v_fmamk_f32 v191, v110, 0xbf1a4643, v194
	v_mul_f32_e32 v199, 0x3f65296c, v18
	v_fma_f32 v201, 0xbf7ba420, v40, -v10
	v_mul_f32_e32 v202, 0x3eb8f4ab, v111
	v_fma_f32 v200, 0xbe8c1d8e, v45, -v198
	v_add_f32_e32 v190, v191, v190
	v_fmamk_f32 v191, v104, 0x3ee437d1, v199
	v_mul_f32_e32 v203, 0xbf763a35, v24
	v_add_f32_e32 v201, v32, v201
	v_fma_f32 v204, 0x3f6eb680, v41, -v202
	v_mul_f32_e32 v205, 0xbf06c442, v112
	v_fma_f32 v11, 0xbf7ba420, v98, -v11
	v_add_f32_e32 v190, v191, v190
	v_fmamk_f32 v191, v63, 0xbe8c1d8e, v203
	v_add_f32_e32 v8, v200, v8
	v_add_f32_e32 v200, v204, v201
	v_fma_f32 v201, 0xbf59a7d5, v42, -v205
	v_mul_f32_e32 v204, 0x3f2c7751, v115
	v_add_f32_e32 v11, v33, v11
	v_fma_f32 v192, 0x3f6eb680, v61, -v192
	v_add_f32_e32 v190, v191, v190
	v_mul_f32_e32 v191, 0x3f7ee86f, v25
	v_add_f32_e32 v200, v201, v200
	v_fma_f32 v201, 0x3f3d2fb0, v38, -v204
	v_mul_f32_e32 v206, 0xbf4c4adb, v107
	v_add_f32_e32 v192, v192, v11
	v_fma_f32 v195, 0xbf59a7d5, v62, -v195
	v_fmamk_f32 v207, v119, 0x3dbcf732, v191
	v_add_f32_e32 v200, v201, v200
	v_fma_f32 v201, 0xbf1a4643, v36, -v206
	v_mul_f32_e32 v208, 0x3f65296c, v113
	v_fmac_f32_e32 v10, 0xbf7ba420, v40
	v_add_f32_e32 v192, v195, v192
	v_fma_f32 v195, 0x3f3d2fb0, v109, -v197
	v_add_f32_e32 v11, v207, v190
	v_add_f32_e32 v190, v201, v200
	v_fma_f32 v200, 0x3ee437d1, v37, -v208
	v_add_f32_e32 v10, v32, v10
	v_fmac_f32_e32 v202, 0x3f6eb680, v41
	v_mul_f32_e32 v197, 0xbf763a35, v116
	v_add_f32_e32 v192, v195, v192
	v_fma_f32 v194, 0xbf1a4643, v110, -v194
	v_add_f32_e32 v190, v200, v190
	v_add_f32_e32 v10, v202, v10
	v_fmac_f32_e32 v205, 0xbf59a7d5, v42
	v_fma_f32 v195, 0xbe8c1d8e, v39, -v197
	v_mul_f32_e32 v200, 0x3f7ee86f, v118
	v_add_f32_e32 v192, v194, v192
	v_fma_f32 v194, 0x3ee437d1, v104, -v199
	v_add_f32_e32 v10, v205, v10
	v_fmac_f32_e32 v204, 0x3f3d2fb0, v38
	v_add_f32_e32 v190, v195, v190
	v_fma_f32 v195, 0x3dbcf732, v45, -v200
	v_add_f32_e32 v192, v194, v192
	v_fma_f32 v194, 0xbe8c1d8e, v63, -v203
	v_fma_f32 v12, 0xbf59a7d5, v98, -v12
	v_add_f32_e32 v199, v204, v10
	v_add_f32_e32 v10, v195, v190
	v_fmac_f32_e32 v182, 0xbf59a7d5, v40
	v_add_f32_e32 v190, v194, v192
	v_add_f32_e32 v12, v33, v12
	v_fma_f32 v194, 0x3ee437d1, v61, -v13
	v_fma_f32 v177, 0x3dbcf732, v62, -v177
	v_add_f32_e32 v182, v32, v182
	v_fmac_f32_e32 v184, 0x3ee437d1, v41
	v_fma_f32 v179, 0xbf1a4643, v109, -v179
	v_add_f32_e32 v12, v194, v12
	v_fmac_f32_e32 v187, 0x3dbcf732, v42
	;; [unrolled: 3-line block ×3, first 2 shown]
	v_add_f32_e32 v177, v177, v12
	v_fma_f32 v15, 0xbe8c1d8e, v61, -v15
	v_add_f32_e32 v14, v33, v14
	v_fmac_f32_e32 v189, 0x3f6eb680, v36
	v_fmac_f32_e32 v193, 0xbf7ba420, v37
	v_add_f32_e32 v177, v179, v177
	v_fma_f32 v179, 0x3f6eb680, v110, -v181
	v_add_f32_e32 v181, v187, v182
	v_add_f32_e32 v14, v15, v14
	v_fma_f32 v15, 0x3f6eb680, v62, -v163
	v_fmac_f32_e32 v196, 0x3f3d2fb0, v39
	v_add_f32_e32 v177, v179, v177
	v_fma_f32 v179, 0xbf7ba420, v104, -v183
	v_add_f32_e32 v181, v186, v181
	v_add_f32_e32 v14, v15, v14
	v_fma_f32 v15, 0xbf59a7d5, v109, -v165
	v_fma_f32 v165, 0xbe8c1d8e, v119, -v188
	v_add_f32_e32 v163, v179, v177
	v_fma_f32 v177, 0x3f3d2fb0, v63, -v185
	v_add_f32_e32 v179, v189, v181
	v_add_f32_e32 v14, v15, v14
	v_fma_f32 v166, 0x3dbcf732, v110, -v166
	v_fmac_f32_e32 v168, 0xbf1a4643, v40
	v_add_f32_e32 v163, v177, v163
	v_add_f32_e32 v177, v193, v179
	v_fmac_f32_e32 v198, 0xbe8c1d8e, v45
	v_fmac_f32_e32 v170, 0xbe8c1d8e, v41
	v_add_f32_e32 v168, v32, v168
	v_add_f32_e32 v15, v165, v163
	;; [unrolled: 1-line block ×4, first 2 shown]
	v_fma_f32 v166, 0x3f3d2fb0, v104, -v169
	v_fma_f32 v16, 0xbe8c1d8e, v98, -v16
	v_fmac_f32_e32 v172, 0x3f6eb680, v42
	v_add_f32_e32 v14, v198, v163
	v_fma_f32 v17, 0xbf59a7d5, v61, -v17
	v_add_f32_e32 v163, v166, v165
	v_fma_f32 v165, 0xbf7ba420, v63, -v171
	v_add_f32_e32 v166, v170, v168
	v_add_f32_e32 v16, v33, v16
	v_fmac_f32_e32 v173, 0xbf59a7d5, v38
	v_fma_f32 v101, 0x3f3d2fb0, v62, -v101
	v_add_f32_e32 v163, v165, v163
	v_fma_f32 v165, 0x3ee437d1, v119, -v174
	v_add_f32_e32 v166, v172, v166
	v_add_f32_e32 v16, v17, v16
	v_fmac_f32_e32 v154, 0xbe8c1d8e, v40
	v_fmac_f32_e32 v175, 0x3dbcf732, v36
	v_add_f32_e32 v17, v165, v163
	v_add_f32_e32 v163, v173, v166
	v_add_f32_e32 v16, v101, v16
	v_fma_f32 v101, 0x3ee437d1, v109, -v152
	v_add_f32_e32 v152, v32, v154
	v_fmac_f32_e32 v156, 0xbf59a7d5, v41
	v_add_f32_e32 v154, v175, v163
	v_fmac_f32_e32 v176, 0x3f3d2fb0, v37
	v_add_f32_e32 v16, v101, v16
	v_fma_f32 v101, 0xbf7ba420, v110, -v153
	v_add_f32_e32 v152, v156, v152
	v_fmac_f32_e32 v158, 0x3f3d2fb0, v42
	v_add_f32_e32 v153, v176, v154
	v_fmac_f32_e32 v178, 0xbf7ba420, v39
	v_add_f32_e32 v16, v101, v16
	;; [unrolled: 6-line block ×3, first 2 shown]
	v_fma_f32 v154, 0x3f6eb680, v63, -v157
	v_add_f32_e32 v152, v159, v152
	v_fmac_f32_e32 v161, 0xbf7ba420, v36
	v_add_f32_e32 v16, v180, v153
	v_fma_f32 v144, 0x3dbcf732, v98, -v144
	v_add_f32_e32 v101, v154, v101
	v_fma_f32 v153, 0xbf1a4643, v119, -v160
	v_add_f32_e32 v154, v161, v152
	v_fmac_f32_e32 v162, 0x3dbcf732, v37
	v_add_f32_e32 v144, v33, v144
	v_fma_f32 v146, 0xbf7ba420, v61, -v146
	v_add_f32_e32 v152, v153, v101
	v_fmac_f32_e32 v150, 0x3dbcf732, v40
	v_add_f32_e32 v101, v162, v154
	v_fmac_f32_e32 v164, 0x3f6eb680, v39
	v_add_f32_e32 v144, v146, v144
	v_fma_f32 v139, 0xbe8c1d8e, v62, -v139
	v_add_f32_e32 v146, v32, v150
	v_fmac_f32_e32 v151, 0xbf7ba420, v41
	v_add_f32_e32 v101, v164, v101
	v_fmac_f32_e32 v167, 0xbf1a4643, v45
	v_add_f32_e32 v139, v139, v144
	v_fma_f32 v140, 0x3f6eb680, v109, -v140
	v_add_f32_e32 v144, v151, v146
	v_fmac_f32_e32 v143, 0xbe8c1d8e, v42
	v_add_f32_e32 v151, v167, v101
	v_fma_f32 v101, 0x3ee437d1, v98, -v120
	v_add_f32_e32 v120, v140, v139
	v_fma_f32 v136, 0x3ee437d1, v110, -v136
	v_fma_f32 v121, 0xbf1a4643, v61, -v121
	v_add_f32_e32 v139, v143, v144
	v_add_f32_e32 v101, v33, v101
	v_fmac_f32_e32 v145, 0x3f6eb680, v38
	v_add_f32_e32 v120, v136, v120
	v_fma_f32 v136, 0xbf59a7d5, v104, -v137
	v_fmac_f32_e32 v149, 0x3ee437d1, v36
	v_add_f32_e32 v101, v121, v101
	v_fma_f32 v121, 0xbf7ba420, v62, -v122
	v_add_f32_e32 v137, v145, v139
	v_add_f32_e32 v120, v136, v120
	v_fma_f32 v122, 0xbf1a4643, v63, -v138
	v_fmac_f32_e32 v131, 0x3ee437d1, v40
	v_add_f32_e32 v101, v121, v101
	v_fma_f32 v121, 0xbe8c1d8e, v109, -v124
	v_add_f32_e32 v136, v149, v137
	v_fmac_f32_e32 v148, 0xbf59a7d5, v37
	v_add_f32_e32 v120, v122, v120
	v_fma_f32 v122, 0x3f3d2fb0, v119, -v142
	v_add_f32_e32 v101, v121, v101
	v_fma_f32 v123, 0x3f3d2fb0, v110, -v123
	v_add_f32_e32 v131, v32, v131
	v_fmac_f32_e32 v134, 0xbf1a4643, v41
	v_add_f32_e32 v124, v148, v136
	v_fmac_f32_e32 v147, 0xbf1a4643, v39
	v_add_f32_e32 v121, v122, v120
	v_add_f32_e32 v101, v123, v101
	v_fma_f32 v120, 0x3f6eb680, v104, -v125
	v_add_f32_e32 v123, v134, v131
	v_fmac_f32_e32 v127, 0xbf7ba420, v42
	v_add_f32_e32 v122, v147, v124
	v_fmac_f32_e32 v141, 0x3f3d2fb0, v45
	v_add_f32_e32 v101, v120, v101
	v_fma_f32 v124, 0x3dbcf732, v63, -v126
	v_mul_f32_e32 v125, 0x3f3d2fb0, v98
	v_add_f32_e32 v123, v127, v123
	v_fmac_f32_e32 v128, 0xbe8c1d8e, v38
	v_add_f32_e32 v120, v141, v122
	v_add_f32_e32 v101, v124, v101
	v_fmamk_f32 v122, v21, 0x3f2c7751, v125
	v_mul_f32_e32 v124, 0x3dbcf732, v61
	v_add_f32_e32 v123, v128, v123
	v_fmac_f32_e32 v129, 0x3f3d2fb0, v36
	v_fma_f32 v126, 0xbf59a7d5, v119, -v133
	v_add_f32_e32 v122, v33, v122
	v_fmamk_f32 v127, v20, 0x3f7ee86f, v124
	v_mul_f32_e32 v128, 0xbf1a4643, v62
	v_add_f32_e32 v129, v129, v123
	v_fmac_f32_e32 v135, 0x3f6eb680, v37
	v_add_f32_e32 v123, v126, v101
	v_add_f32_e32 v101, v127, v122
	v_fmamk_f32 v122, v22, 0x3f4c4adb, v128
	v_mul_f32_e32 v126, 0xbf7ba420, v109
	v_add_f32_e32 v127, v135, v129
	v_fmac_f32_e32 v132, 0x3dbcf732, v39
	v_mul_f32_e32 v129, 0xbf2c7751, v108
	v_add_f32_e32 v101, v122, v101
	v_fmamk_f32 v122, v23, 0x3e3c28d5, v126
	v_mul_f32_e32 v131, 0xbf59a7d5, v110
	v_add_f32_e32 v127, v132, v127
	v_fmamk_f32 v132, v40, 0x3f3d2fb0, v129
	v_mul_f32_e32 v133, 0xbf7ee86f, v111
	v_add_f32_e32 v101, v122, v101
	v_fmamk_f32 v122, v19, 0xbf06c442, v131
	v_mul_f32_e32 v134, 0xbe8c1d8e, v104
	v_add_f32_e32 v132, v32, v132
	v_fmamk_f32 v135, v41, 0x3dbcf732, v133
	v_mul_f32_e32 v136, 0xbf4c4adb, v112
	v_add_f32_e32 v101, v122, v101
	v_fmamk_f32 v122, v18, 0xbf763a35, v134
	v_mul_f32_e32 v137, 0x3ee437d1, v63
	v_add_f32_e32 v132, v135, v132
	v_fmamk_f32 v135, v42, 0xbf1a4643, v136
	v_mul_f32_e32 v138, 0xbe3c28d5, v115
	v_fmac_f32_e32 v130, 0xbf59a7d5, v45
	v_add_f32_e32 v101, v122, v101
	v_fmamk_f32 v139, v24, 0xbf65296c, v137
	v_add_f32_e32 v132, v135, v132
	v_fmamk_f32 v135, v38, 0xbf7ba420, v138
	v_mul_f32_e32 v140, 0x3f06c442, v107
	v_mul_f32_e32 v98, 0x3f6eb680, v98
	v_add_f32_e32 v122, v130, v127
	v_add_f32_e32 v101, v139, v101
	;; [unrolled: 1-line block ×3, first 2 shown]
	v_fmamk_f32 v130, v36, 0xbf59a7d5, v140
	v_mul_f32_e32 v132, 0x3f763a35, v113
	v_fmamk_f32 v139, v21, 0x3eb8f4ab, v98
	v_mul_f32_e32 v141, 0x3f3d2fb0, v61
	v_mul_f32_e32 v143, 0x3ee437d1, v62
	v_add_f32_e32 v61, v130, v127
	v_fmamk_f32 v127, v37, 0xbe8c1d8e, v132
	v_mul_f32_e32 v130, 0x3f65296c, v116
	v_add_f32_e32 v139, v33, v139
	v_fmamk_f32 v142, v20, 0x3f2c7751, v141
	v_add_f32_e32 v97, v97, v33
	v_add_f32_e32 v103, v32, v103
	;; [unrolled: 1-line block ×3, first 2 shown]
	v_fmamk_f32 v127, v39, 0x3ee437d1, v130
	v_add_f32_e32 v139, v142, v139
	v_fmamk_f32 v142, v22, 0x3f65296c, v143
	v_mul_f32_e32 v109, 0x3dbcf732, v109
	v_add_f32_e32 v59, v59, v97
	v_add_f32_e32 v34, v34, v103
	;; [unrolled: 1-line block ×4, first 2 shown]
	v_fmamk_f32 v139, v23, 0x3f7ee86f, v109
	v_mul_f32_e32 v110, 0xbe8c1d8e, v110
	v_add_f32_e32 v56, v56, v59
	v_add_f32_e32 v34, v58, v34
	v_mul_f32_e32 v104, 0xbf1a4643, v104
	v_add_f32_e32 v127, v139, v127
	v_fmamk_f32 v139, v19, 0x3f763a35, v110
	v_add_f32_e32 v55, v55, v56
	v_add_f32_e32 v34, v57, v34
	v_fmamk_f32 v103, v18, 0x3f4c4adb, v104
	v_mul_f32_e32 v58, 0xbf59a7d5, v63
	v_add_f32_e32 v97, v139, v127
	v_mul_f32_e32 v59, 0xbeb8f4ab, v108
	v_add_f32_e32 v51, v51, v55
	v_add_f32_e32 v34, v54, v34
	v_fmamk_f32 v56, v24, 0x3f06c442, v58
	v_add_f32_e32 v63, v103, v97
	v_fmamk_f32 v57, v40, 0x3f6eb680, v59
	v_mul_f32_e32 v97, 0xbf2c7751, v111
	v_add_f32_e32 v51, v60, v51
	v_add_f32_e32 v34, v52, v34
	;; [unrolled: 1-line block ×4, first 2 shown]
	v_fmamk_f32 v56, v41, 0x3f3d2fb0, v97
	v_mul_f32_e32 v57, 0xbf7ba420, v119
	v_add_f32_e32 v47, v47, v51
	v_add_f32_e32 v34, v53, v34
	v_mul_f32_e32 v52, 0xbf65296c, v112
	v_add_f32_e32 v55, v56, v55
	v_fmamk_f32 v56, v25, 0x3e3c28d5, v57
	v_add_f32_e32 v60, v117, v47
	v_add_f32_e32 v34, v106, v34
	v_fmac_f32_e32 v125, 0xbf2c7751, v21
	v_fmac_f32_e32 v98, 0xbeb8f4ab, v21
	v_add_f32_e32 v47, v56, v54
	v_add_f32_e32 v54, v114, v60
	;; [unrolled: 1-line block ×3, first 2 shown]
	v_fma_f32 v21, 0x3f6eb680, v40, -v59
	v_fmamk_f32 v51, v42, 0x3ee437d1, v52
	v_mul_f32_e32 v53, 0xbf7ee86f, v115
	v_add_f32_e32 v46, v46, v54
	v_add_f32_e32 v34, v44, v34
	;; [unrolled: 1-line block ×3, first 2 shown]
	v_fmac_f32_e32 v124, 0xbf7ee86f, v20
	v_fmac_f32_e32 v141, 0xbf2c7751, v20
	v_add_f32_e32 v43, v43, v46
	v_add_f32_e32 v34, v50, v34
	;; [unrolled: 1-line block ×3, first 2 shown]
	v_fma_f32 v21, 0x3f3d2fb0, v41, -v97
	v_add_f32_e32 v51, v51, v55
	v_add_f32_e32 v43, v49, v43
	;; [unrolled: 1-line block ×3, first 2 shown]
	v_fmamk_f32 v55, v38, 0x3dbcf732, v53
	v_add_f32_e32 v44, v124, v44
	v_fmac_f32_e32 v128, 0xbf4c4adb, v22
	v_add_f32_e32 v35, v35, v43
	v_add_f32_e32 v27, v27, v34
	v_fmac_f32_e32 v143, 0xbf65296c, v22
	v_add_f32_e32 v20, v21, v20
	v_fma_f32 v21, 0x3ee437d1, v42, -v52
	v_add_f32_e32 v26, v26, v35
	v_add_f32_e32 v27, v29, v27
	v_add_f32_e32 v51, v55, v51
	v_mul_f32_e32 v55, 0xbf763a35, v107
	v_add_f32_e32 v44, v128, v44
	v_add_f32_e32 v26, v28, v26
	;; [unrolled: 1-line block ×4, first 2 shown]
	v_fmac_f32_e32 v126, 0xbe3c28d5, v23
	v_fmac_f32_e32 v109, 0xbf7ee86f, v23
	v_add_f32_e32 v27, v30, v26
	v_add_f32_e32 v26, v102, v28
	v_fma_f32 v28, 0x3f3d2fb0, v40, -v129
	v_fma_f32 v30, 0x3dbcf732, v41, -v133
	v_add_f32_e32 v31, v141, v31
	v_add_f32_e32 v20, v21, v20
	v_fma_f32 v21, 0x3dbcf732, v38, -v53
	v_add_f32_e32 v28, v32, v28
	v_fmac_f32_e32 v206, 0xbf1a4643, v36
	v_mul_f32_e32 v135, 0x3f6eb680, v119
	v_fmamk_f32 v54, v36, 0xbe8c1d8e, v55
	v_mul_f32_e32 v56, 0xbf4c4adb, v113
	v_add_f32_e32 v28, v30, v28
	v_fma_f32 v30, 0xbf1a4643, v42, -v136
	v_add_f32_e32 v34, v126, v44
	v_fmac_f32_e32 v131, 0x3f06c442, v19
	v_fma_f32 v23, 0xbf59a7d5, v36, -v140
	v_fmac_f32_e32 v110, 0xbf763a35, v19
	v_add_f32_e32 v22, v30, v28
	v_fma_f32 v28, 0xbf7ba420, v38, -v138
	v_add_f32_e32 v30, v143, v31
	v_add_f32_e32 v19, v21, v20
	v_fma_f32 v20, 0xbe8c1d8e, v36, -v55
	v_fma_f32 v191, 0x3dbcf732, v119, -v191
	v_add_f32_e32 v22, v28, v22
	v_add_f32_e32 v28, v109, v30
	;; [unrolled: 1-line block ×3, first 2 shown]
	v_fmac_f32_e32 v208, 0x3ee437d1, v37
	v_fmamk_f32 v62, v25, 0xbeb8f4ab, v135
	v_add_f32_e32 v46, v54, v51
	v_fmamk_f32 v50, v37, 0xbf1a4643, v56
	v_mul_f32_e32 v48, 0xbf06c442, v116
	v_add_f32_e32 v29, v131, v34
	v_fmac_f32_e32 v134, 0x3f763a35, v18
	v_add_f32_e32 v21, v23, v22
	v_fma_f32 v22, 0xbe8c1d8e, v37, -v132
	v_add_f32_e32 v23, v110, v28
	v_fmac_f32_e32 v104, 0xbf4c4adb, v18
	v_add_f32_e32 v18, v20, v19
	v_fma_f32 v19, 0xbf1a4643, v37, -v56
	v_add_f32_e32 v13, v191, v190
	v_add_f32_e32 v190, v208, v192
	v_fmac_f32_e32 v197, 0xbe8c1d8e, v39
	v_add_f32_e32 v62, v62, v101
	v_mul_f32_e32 v101, 0x3eb8f4ab, v118
	v_add_f32_e32 v46, v50, v46
	v_fmamk_f32 v43, v39, 0xbf59a7d5, v48
	v_mul_f32_e32 v44, 0xbe3c28d5, v118
	v_add_f32_e32 v29, v134, v29
	v_fmac_f32_e32 v137, 0x3f65296c, v24
	v_add_f32_e32 v20, v22, v21
	v_fma_f32 v21, 0x3ee437d1, v39, -v130
	v_add_f32_e32 v22, v104, v23
	v_fmac_f32_e32 v58, 0xbf06c442, v24
	v_add_f32_e32 v18, v19, v18
	v_fma_f32 v19, 0xbf59a7d5, v39, -v48
	v_add_f32_e32 v190, v197, v190
	v_fmac_f32_e32 v200, 0x3dbcf732, v45
	v_fmamk_f32 v142, v45, 0x3f6eb680, v101
	v_add_f32_e32 v34, v43, v46
	v_fmamk_f32 v35, v45, 0xbf7ba420, v44
	v_add_f32_e32 v29, v137, v29
	v_fmac_f32_e32 v135, 0x3eb8f4ab, v25
	v_add_f32_e32 v20, v21, v20
	v_fma_f32 v21, 0x3f6eb680, v45, -v101
	v_add_f32_e32 v22, v58, v22
	v_fmac_f32_e32 v57, 0xbe3c28d5, v25
	v_add_f32_e32 v23, v19, v18
	v_fma_f32 v24, 0xbf7ba420, v45, -v44
	v_lshl_add_u32 v25, v99, 3, v209
	v_add_f32_e32 v12, v200, v190
	v_add_f32_e32 v61, v142, v61
	;; [unrolled: 1-line block ×7, first 2 shown]
	ds_write_b64 v100, v[26:27]
	ds_write2_b64 v25, v[46:47], v[61:62] offset0:16 offset1:32
	ds_write2_b64 v25, v[122:123], v[120:121] offset0:48 offset1:64
	;; [unrolled: 1-line block ×3, first 2 shown]
	v_add_nc_u32_e32 v16, 0x400, v25
	ds_write2_b64 v25, v[14:15], v[12:13] offset0:112 offset1:128
	ds_write2_b64 v25, v[10:11], v[8:9] offset0:144 offset1:160
	;; [unrolled: 1-line block ×5, first 2 shown]
.LBB0_9:
	s_or_b32 exec_lo, exec_lo, s0
	s_waitcnt lgkmcnt(0)
	s_barrier
	buffer_gl0_inv
	ds_read2_b64 v[0:3], v100 offset1:17
	ds_read2_b64 v[4:7], v100 offset0:34 offset1:51
	v_mad_u64_u32 v[18:19], null, s8, v99, 0
	v_mad_u64_u32 v[16:17], null, s10, v76, 0
	ds_read2_b64 v[8:11], v100 offset0:68 offset1:85
	ds_read2_b64 v[12:15], v100 offset0:102 offset1:119
	s_mov_b32 s0, 0x1e1e1e1e
	s_mov_b32 s1, 0x3f6e1e1e
	s_mul_i32 s3, s9, 0x88
	s_mul_hi_u32 s6, s8, 0x88
	s_mul_i32 s2, s8, 0x88
	s_add_i32 s3, s6, s3
	s_waitcnt lgkmcnt(3)
	v_mul_f32_e32 v21, v82, v1
	v_mul_f32_e32 v20, v82, v0
	s_waitcnt lgkmcnt(2)
	v_mul_f32_e32 v24, v90, v5
	v_mul_f32_e32 v25, v90, v4
	v_mul_f32_e32 v28, v88, v7
	v_fmac_f32_e32 v21, v81, v0
	v_fma_f32 v22, v81, v1, -v20
	v_mad_u64_u32 v[19:20], null, s9, v99, v[19:20]
	v_mad_u64_u32 v[0:1], null, s11, v76, v[17:18]
	v_cvt_f64_f32_e32 v[20:21], v21
	v_cvt_f64_f32_e32 v[22:23], v22
	v_mul_f32_e32 v1, v84, v3
	v_mul_f32_e32 v17, v84, v2
	v_fmac_f32_e32 v24, v89, v4
	v_fma_f32 v5, v89, v5, -v25
	v_mul_f32_e32 v29, v88, v6
	v_fmac_f32_e32 v1, v83, v2
	v_fma_f32 v3, v83, v3, -v17
	v_cvt_f64_f32_e32 v[24:25], v24
	v_cvt_f64_f32_e32 v[26:27], v5
	s_waitcnt lgkmcnt(1)
	v_mul_f32_e32 v30, v94, v9
	v_cvt_f64_f32_e32 v[1:2], v1
	v_cvt_f64_f32_e32 v[3:4], v3
	v_mul_f32_e32 v31, v94, v8
	v_mul_f32_e32 v32, v96, v11
	v_mov_b32_e32 v17, v0
	v_fmac_f32_e32 v28, v87, v6
	v_fma_f32 v0, v87, v7, -v29
	v_fmac_f32_e32 v30, v93, v8
	v_fma_f32 v29, v93, v9, -v31
	v_mul_f32_e32 v33, v96, v10
	v_mul_f64 v[20:21], v[20:21], s[0:1]
	v_mul_f64 v[22:23], v[22:23], s[0:1]
	v_fmac_f32_e32 v32, v95, v10
	v_lshlrev_b64 v[5:6], 3, v[16:17]
	v_cvt_f64_f32_e32 v[9:10], v28
	v_cvt_f64_f32_e32 v[16:17], v0
	v_lshlrev_b64 v[7:8], 3, v[18:19]
	v_cvt_f64_f32_e32 v[18:19], v30
	v_cvt_f64_f32_e32 v[28:29], v29
	v_mul_f64 v[24:25], v[24:25], s[0:1]
	v_mul_f64 v[26:27], v[26:27], s[0:1]
	v_fma_f32 v11, v95, v11, -v33
	v_mul_f64 v[0:1], v[1:2], s[0:1]
	v_mul_f64 v[2:3], v[3:4], s[0:1]
	v_cvt_f64_f32_e32 v[30:31], v32
	v_add_co_u32 v4, vcc_lo, s4, v5
	v_cvt_f64_f32_e32 v[32:33], v11
	v_add_co_ci_u32_e32 v5, vcc_lo, s5, v6, vcc_lo
	s_waitcnt lgkmcnt(0)
	v_mul_f32_e32 v34, v86, v13
	v_add_co_u32 v4, vcc_lo, v4, v7
	v_cvt_f32_f64_e32 v20, v[20:21]
	v_cvt_f32_f64_e32 v21, v[22:23]
	v_add_co_ci_u32_e32 v5, vcc_lo, v5, v8, vcc_lo
	v_mul_f64 v[8:9], v[9:10], s[0:1]
	v_mul_f64 v[16:17], v[16:17], s[0:1]
	v_mul_f32_e32 v35, v86, v12
	v_fmac_f32_e32 v34, v85, v12
	v_cvt_f32_f64_e32 v22, v[24:25]
	v_mul_f64 v[18:19], v[18:19], s[0:1]
	v_mul_f64 v[24:25], v[28:29], s[0:1]
	v_cvt_f32_f64_e32 v11, v[0:1]
	v_cvt_f32_f64_e32 v12, v[2:3]
	v_mul_f32_e32 v36, v92, v15
	v_cvt_f32_f64_e32 v23, v[26:27]
	v_mul_f32_e32 v0, v92, v14
	v_fma_f32 v1, v85, v13, -v35
	v_add_co_u32 v6, vcc_lo, v4, s2
	v_fmac_f32_e32 v36, v91, v14
	v_add_co_ci_u32_e32 v7, vcc_lo, s3, v5, vcc_lo
	v_mul_f64 v[26:27], v[30:31], s[0:1]
	global_store_dwordx2 v[4:5], v[20:21], off
	v_mul_f64 v[4:5], v[32:33], s[0:1]
	v_cvt_f64_f32_e32 v[30:31], v36
	v_fma_f32 v10, v91, v15, -v0
	v_cvt_f64_f32_e32 v[28:29], v1
	ds_read2_b64 v[0:3], v100 offset0:136 offset1:153
	v_cvt_f64_f32_e32 v[20:21], v34
	v_add_co_u32 v13, vcc_lo, v6, s2
	v_add_co_ci_u32_e32 v14, vcc_lo, s3, v7, vcc_lo
	v_cvt_f64_f32_e32 v[32:33], v10
	v_cvt_f32_f64_e32 v8, v[8:9]
	v_cvt_f32_f64_e32 v9, v[16:17]
	global_store_dwordx2 v[6:7], v[11:12], off
	global_store_dwordx2 v[13:14], v[22:23], off
	v_add_co_u32 v10, vcc_lo, v13, s2
	v_cvt_f32_f64_e32 v12, v[18:19]
	v_cvt_f32_f64_e32 v13, v[24:25]
	v_add_co_ci_u32_e32 v11, vcc_lo, s3, v14, vcc_lo
	v_cvt_f32_f64_e32 v16, v[26:27]
	v_add_co_u32 v14, vcc_lo, v10, s2
	v_cvt_f32_f64_e32 v17, v[4:5]
	s_waitcnt lgkmcnt(0)
	v_mul_f32_e32 v4, v80, v0
	v_mul_f64 v[22:23], v[30:31], s[0:1]
	v_mul_f32_e32 v30, v78, v3
	v_mul_f64 v[18:19], v[20:21], s[0:1]
	v_mul_f64 v[20:21], v[28:29], s[0:1]
	v_fma_f32 v28, v79, v1, -v4
	v_add_co_ci_u32_e32 v15, vcc_lo, s3, v11, vcc_lo
	v_fmac_f32_e32 v30, v77, v2
	ds_read2_b64 v[4:7], v100 offset0:170 offset1:187
	v_mul_f64 v[24:25], v[32:33], s[0:1]
	v_cvt_f64_f32_e32 v[28:29], v28
	global_store_dwordx2 v[10:11], v[8:9], off
	global_store_dwordx2 v[14:15], v[12:13], off
	v_cvt_f64_f32_e32 v[8:9], v30
	v_mul_f32_e32 v26, v80, v1
	v_mul_f32_e32 v31, v78, v2
	v_fmac_f32_e32 v26, v79, v0
	v_add_co_u32 v0, vcc_lo, v14, s2
	v_add_co_ci_u32_e32 v1, vcc_lo, s3, v15, vcc_lo
	v_fma_f32 v2, v77, v3, -v31
	v_cvt_f64_f32_e32 v[26:27], v26
	v_cvt_f32_f64_e32 v14, v[18:19]
	global_store_dwordx2 v[0:1], v[16:17], off
	v_add_co_u32 v16, vcc_lo, v0, s2
	v_cvt_f64_f32_e32 v[12:13], v2
	v_add_co_ci_u32_e32 v17, vcc_lo, s3, v1, vcc_lo
	ds_read2_b64 v[0:3], v100 offset0:204 offset1:221
	s_waitcnt lgkmcnt(1)
	v_mul_f32_e32 v30, v71, v5
	v_mul_f32_e32 v10, v71, v4
	v_cvt_f32_f64_e32 v19, v[24:25]
	v_mul_f64 v[24:25], v[28:29], s[0:1]
	v_cvt_f32_f64_e32 v18, v[22:23]
	v_fmac_f32_e32 v30, v70, v4
	v_fma_f32 v28, v70, v5, -v10
	v_mul_f64 v[4:5], v[8:9], s[0:1]
	ds_read2_b64 v[8:11], v100 offset0:238 offset1:255
	v_mul_f32_e32 v31, v67, v6
	v_cvt_f32_f64_e32 v15, v[20:21]
	v_cvt_f64_f32_e32 v[28:29], v28
	v_add_co_u32 v20, vcc_lo, v16, s2
	v_mul_f64 v[22:23], v[26:27], s[0:1]
	v_cvt_f64_f32_e32 v[26:27], v30
	v_mul_f32_e32 v30, v67, v7
	v_add_co_ci_u32_e32 v21, vcc_lo, s3, v17, vcc_lo
	s_waitcnt lgkmcnt(1)
	v_mul_f32_e32 v34, v65, v3
	v_mul_f32_e32 v32, v69, v1
	;; [unrolled: 1-line block ×3, first 2 shown]
	v_fmac_f32_e32 v30, v66, v6
	v_fma_f32 v6, v66, v7, -v31
	v_fmac_f32_e32 v34, v64, v2
	v_mul_f32_e32 v2, v65, v2
	v_fmac_f32_e32 v32, v68, v0
	v_fma_f32 v33, v68, v1, -v33
	s_waitcnt lgkmcnt(0)
	v_mul_f32_e32 v36, v73, v9
	v_mul_f32_e32 v37, v73, v8
	;; [unrolled: 1-line block ×4, first 2 shown]
	v_fma_f32 v2, v64, v3, -v2
	v_fmac_f32_e32 v36, v72, v8
	v_fma_f32 v37, v72, v9, -v37
	v_cvt_f64_f32_e32 v[0:1], v30
	v_cvt_f64_f32_e32 v[6:7], v6
	v_fmac_f32_e32 v38, v74, v10
	v_fma_f32 v39, v74, v11, -v39
	v_mul_f64 v[12:13], v[12:13], s[0:1]
	v_cvt_f64_f32_e32 v[30:31], v32
	v_cvt_f64_f32_e32 v[32:33], v33
	;; [unrolled: 1-line block ×8, first 2 shown]
	global_store_dwordx2 v[16:17], v[14:15], off
	global_store_dwordx2 v[20:21], v[18:19], off
	v_mul_f64 v[16:17], v[26:27], s[0:1]
	v_mul_f64 v[18:19], v[28:29], s[0:1]
	v_cvt_f32_f64_e32 v14, v[22:23]
	v_cvt_f32_f64_e32 v4, v[4:5]
	;; [unrolled: 1-line block ×3, first 2 shown]
	v_add_co_u32 v20, vcc_lo, v20, s2
	v_add_co_ci_u32_e32 v21, vcc_lo, s3, v21, vcc_lo
	v_mul_f64 v[0:1], v[0:1], s[0:1]
	v_mul_f64 v[6:7], v[6:7], s[0:1]
	v_cvt_f32_f64_e32 v5, v[12:13]
	v_mul_f64 v[12:13], v[30:31], s[0:1]
	v_mul_f64 v[22:23], v[32:33], s[0:1]
	v_mul_f64 v[24:25], v[34:35], s[0:1]
	v_mul_f64 v[2:3], v[2:3], s[0:1]
	v_mul_f64 v[8:9], v[8:9], s[0:1]
	v_mul_f64 v[10:11], v[10:11], s[0:1]
	v_mul_f64 v[26:27], v[36:37], s[0:1]
	v_mul_f64 v[28:29], v[38:39], s[0:1]
	v_add_co_u32 v30, vcc_lo, v20, s2
	v_add_co_ci_u32_e32 v31, vcc_lo, s3, v21, vcc_lo
	v_cvt_f32_f64_e32 v16, v[16:17]
	v_cvt_f32_f64_e32 v17, v[18:19]
	v_add_co_u32 v18, vcc_lo, v30, s2
	v_add_co_ci_u32_e32 v19, vcc_lo, s3, v31, vcc_lo
	v_cvt_f32_f64_e32 v0, v[0:1]
	v_cvt_f32_f64_e32 v1, v[6:7]
	;; [unrolled: 4-line block ×3, first 2 shown]
	v_cvt_f32_f64_e32 v22, v[24:25]
	v_cvt_f32_f64_e32 v23, v[2:3]
	v_cvt_f32_f64_e32 v2, v[8:9]
	v_cvt_f32_f64_e32 v3, v[10:11]
	v_cvt_f32_f64_e32 v8, v[26:27]
	v_cvt_f32_f64_e32 v9, v[28:29]
	v_add_co_u32 v10, vcc_lo, v6, s2
	v_add_co_ci_u32_e32 v11, vcc_lo, s3, v7, vcc_lo
	global_store_dwordx2 v[20:21], v[14:15], off
	v_add_co_u32 v14, vcc_lo, v10, s2
	v_add_co_ci_u32_e32 v15, vcc_lo, s3, v11, vcc_lo
	global_store_dwordx2 v[30:31], v[4:5], off
	;; [unrolled: 3-line block ×4, first 2 shown]
	global_store_dwordx2 v[10:11], v[12:13], off
	global_store_dwordx2 v[14:15], v[22:23], off
	;; [unrolled: 1-line block ×4, first 2 shown]
.LBB0_10:
	s_endpgm
	.section	.rodata,"a",@progbits
	.p2align	6, 0x0
	.amdhsa_kernel bluestein_single_back_len272_dim1_sp_op_CI_CI
		.amdhsa_group_segment_fixed_size 15232
		.amdhsa_private_segment_fixed_size 28
		.amdhsa_kernarg_size 104
		.amdhsa_user_sgpr_count 6
		.amdhsa_user_sgpr_private_segment_buffer 1
		.amdhsa_user_sgpr_dispatch_ptr 0
		.amdhsa_user_sgpr_queue_ptr 0
		.amdhsa_user_sgpr_kernarg_segment_ptr 1
		.amdhsa_user_sgpr_dispatch_id 0
		.amdhsa_user_sgpr_flat_scratch_init 0
		.amdhsa_user_sgpr_private_segment_size 0
		.amdhsa_wavefront_size32 1
		.amdhsa_uses_dynamic_stack 0
		.amdhsa_system_sgpr_private_segment_wavefront_offset 1
		.amdhsa_system_sgpr_workgroup_id_x 1
		.amdhsa_system_sgpr_workgroup_id_y 0
		.amdhsa_system_sgpr_workgroup_id_z 0
		.amdhsa_system_sgpr_workgroup_info 0
		.amdhsa_system_vgpr_workitem_id 0
		.amdhsa_next_free_vgpr 256
		.amdhsa_next_free_sgpr 24
		.amdhsa_reserve_vcc 1
		.amdhsa_reserve_flat_scratch 0
		.amdhsa_float_round_mode_32 0
		.amdhsa_float_round_mode_16_64 0
		.amdhsa_float_denorm_mode_32 3
		.amdhsa_float_denorm_mode_16_64 3
		.amdhsa_dx10_clamp 1
		.amdhsa_ieee_mode 1
		.amdhsa_fp16_overflow 0
		.amdhsa_workgroup_processor_mode 1
		.amdhsa_memory_ordered 1
		.amdhsa_forward_progress 0
		.amdhsa_shared_vgpr_count 0
		.amdhsa_exception_fp_ieee_invalid_op 0
		.amdhsa_exception_fp_denorm_src 0
		.amdhsa_exception_fp_ieee_div_zero 0
		.amdhsa_exception_fp_ieee_overflow 0
		.amdhsa_exception_fp_ieee_underflow 0
		.amdhsa_exception_fp_ieee_inexact 0
		.amdhsa_exception_int_div_zero 0
	.end_amdhsa_kernel
	.text
.Lfunc_end0:
	.size	bluestein_single_back_len272_dim1_sp_op_CI_CI, .Lfunc_end0-bluestein_single_back_len272_dim1_sp_op_CI_CI
                                        ; -- End function
	.section	.AMDGPU.csdata,"",@progbits
; Kernel info:
; codeLenInByte = 16492
; NumSgprs: 26
; NumVgprs: 256
; ScratchSize: 28
; MemoryBound: 0
; FloatMode: 240
; IeeeMode: 1
; LDSByteSize: 15232 bytes/workgroup (compile time only)
; SGPRBlocks: 3
; VGPRBlocks: 31
; NumSGPRsForWavesPerEU: 26
; NumVGPRsForWavesPerEU: 256
; Occupancy: 4
; WaveLimiterHint : 1
; COMPUTE_PGM_RSRC2:SCRATCH_EN: 1
; COMPUTE_PGM_RSRC2:USER_SGPR: 6
; COMPUTE_PGM_RSRC2:TRAP_HANDLER: 0
; COMPUTE_PGM_RSRC2:TGID_X_EN: 1
; COMPUTE_PGM_RSRC2:TGID_Y_EN: 0
; COMPUTE_PGM_RSRC2:TGID_Z_EN: 0
; COMPUTE_PGM_RSRC2:TIDIG_COMP_CNT: 0
	.text
	.p2alignl 6, 3214868480
	.fill 48, 4, 3214868480
	.type	__hip_cuid_1f676bf90eb89605,@object ; @__hip_cuid_1f676bf90eb89605
	.section	.bss,"aw",@nobits
	.globl	__hip_cuid_1f676bf90eb89605
__hip_cuid_1f676bf90eb89605:
	.byte	0                               ; 0x0
	.size	__hip_cuid_1f676bf90eb89605, 1

	.ident	"AMD clang version 19.0.0git (https://github.com/RadeonOpenCompute/llvm-project roc-6.4.0 25133 c7fe45cf4b819c5991fe208aaa96edf142730f1d)"
	.section	".note.GNU-stack","",@progbits
	.addrsig
	.addrsig_sym __hip_cuid_1f676bf90eb89605
	.amdgpu_metadata
---
amdhsa.kernels:
  - .args:
      - .actual_access:  read_only
        .address_space:  global
        .offset:         0
        .size:           8
        .value_kind:     global_buffer
      - .actual_access:  read_only
        .address_space:  global
        .offset:         8
        .size:           8
        .value_kind:     global_buffer
      - .actual_access:  read_only
        .address_space:  global
        .offset:         16
        .size:           8
        .value_kind:     global_buffer
      - .actual_access:  read_only
        .address_space:  global
        .offset:         24
        .size:           8
        .value_kind:     global_buffer
      - .actual_access:  read_only
        .address_space:  global
        .offset:         32
        .size:           8
        .value_kind:     global_buffer
      - .offset:         40
        .size:           8
        .value_kind:     by_value
      - .address_space:  global
        .offset:         48
        .size:           8
        .value_kind:     global_buffer
      - .address_space:  global
        .offset:         56
        .size:           8
        .value_kind:     global_buffer
      - .address_space:  global
        .offset:         64
        .size:           8
        .value_kind:     global_buffer
      - .address_space:  global
        .offset:         72
        .size:           8
        .value_kind:     global_buffer
      - .offset:         80
        .size:           4
        .value_kind:     by_value
      - .address_space:  global
        .offset:         88
        .size:           8
        .value_kind:     global_buffer
      - .address_space:  global
        .offset:         96
        .size:           8
        .value_kind:     global_buffer
    .group_segment_fixed_size: 15232
    .kernarg_segment_align: 8
    .kernarg_segment_size: 104
    .language:       OpenCL C
    .language_version:
      - 2
      - 0
    .max_flat_workgroup_size: 119
    .name:           bluestein_single_back_len272_dim1_sp_op_CI_CI
    .private_segment_fixed_size: 28
    .sgpr_count:     26
    .sgpr_spill_count: 0
    .symbol:         bluestein_single_back_len272_dim1_sp_op_CI_CI.kd
    .uniform_work_group_size: 1
    .uses_dynamic_stack: false
    .vgpr_count:     256
    .vgpr_spill_count: 6
    .wavefront_size: 32
    .workgroup_processor_mode: 1
amdhsa.target:   amdgcn-amd-amdhsa--gfx1030
amdhsa.version:
  - 1
  - 2
...

	.end_amdgpu_metadata
